;; amdgpu-corpus repo=zjin-lcf/HeCBench kind=compiled arch=gfx1030 opt=O3
	.amdgcn_target "amdgcn-amd-amdhsa--gfx1030"
	.amdhsa_code_object_version 6
	.text
	.protected	_Z9ccc_loop1PKiS0_PKdS2_S2_S2_PdiiPi ; -- Begin function _Z9ccc_loop1PKiS0_PKdS2_S2_S2_PdiiPi
	.globl	_Z9ccc_loop1PKiS0_PKdS2_S2_S2_PdiiPi
	.p2align	8
	.type	_Z9ccc_loop1PKiS0_PKdS2_S2_S2_PdiiPi,@function
_Z9ccc_loop1PKiS0_PKdS2_S2_S2_PdiiPi:   ; @_Z9ccc_loop1PKiS0_PKdS2_S2_S2_PdiiPi
; %bb.0:
	s_clause 0x1
	s_load_dword s0, s[4:5], 0x54
	s_load_dwordx2 s[2:3], s[4:5], 0x38
	s_waitcnt lgkmcnt(0)
	s_lshr_b32 s1, s0, 16
	s_and_b32 s0, s0, 0xffff
	v_mad_u64_u32 v[2:3], null, s6, s0, v[0:1]
	v_mad_u64_u32 v[0:1], null, s7, s1, v[1:2]
	v_cmp_gt_i32_e32 vcc_lo, s2, v2
	v_cmp_gt_i32_e64 s0, s3, v0
	s_and_b32 s0, vcc_lo, s0
	s_and_saveexec_b32 s1, s0
	s_cbranch_execz .LBB0_2
; %bb.1:
	s_load_dwordx2 s[6:7], s[4:5], 0x10
	v_mad_u64_u32 v[0:1], null, v0, s2, v[2:3]
	s_load_dwordx4 s[0:3], s[4:5], 0x28
	v_ashrrev_i32_e32 v1, 31, v0
	v_lshlrev_b64 v[0:1], 3, v[0:1]
	s_waitcnt lgkmcnt(0)
	v_add_co_u32 v2, vcc_lo, s6, v0
	v_add_co_ci_u32_e64 v3, null, s7, v1, vcc_lo
	v_add_co_u32 v4, vcc_lo, s0, v0
	v_add_co_ci_u32_e64 v5, null, s1, v1, vcc_lo
	global_load_dwordx2 v[2:3], v[2:3], off
	global_load_dwordx2 v[4:5], v[4:5], off
	s_waitcnt vmcnt(0)
	v_div_scale_f64 v[6:7], null, v[4:5], v[4:5], v[2:3]
	v_rcp_f64_e32 v[8:9], v[6:7]
	v_fma_f64 v[10:11], -v[6:7], v[8:9], 1.0
	v_fma_f64 v[8:9], v[8:9], v[10:11], v[8:9]
	v_fma_f64 v[10:11], -v[6:7], v[8:9], 1.0
	v_fma_f64 v[8:9], v[8:9], v[10:11], v[8:9]
	v_div_scale_f64 v[10:11], vcc_lo, v[2:3], v[4:5], v[2:3]
	v_mul_f64 v[12:13], v[10:11], v[8:9]
	v_fma_f64 v[6:7], -v[6:7], v[12:13], v[10:11]
	v_div_fmas_f64 v[6:7], v[6:7], v[8:9], v[12:13]
	v_add_co_u32 v0, vcc_lo, s2, v0
	v_add_co_ci_u32_e64 v1, null, s3, v1, vcc_lo
	v_div_fixup_f64 v[2:3], v[6:7], v[4:5], v[2:3]
	global_store_dwordx2 v[0:1], v[2:3], off
.LBB0_2:
	s_endpgm
	.section	.rodata,"a",@progbits
	.p2align	6, 0x0
	.amdhsa_kernel _Z9ccc_loop1PKiS0_PKdS2_S2_S2_PdiiPi
		.amdhsa_group_segment_fixed_size 0
		.amdhsa_private_segment_fixed_size 0
		.amdhsa_kernarg_size 328
		.amdhsa_user_sgpr_count 6
		.amdhsa_user_sgpr_private_segment_buffer 1
		.amdhsa_user_sgpr_dispatch_ptr 0
		.amdhsa_user_sgpr_queue_ptr 0
		.amdhsa_user_sgpr_kernarg_segment_ptr 1
		.amdhsa_user_sgpr_dispatch_id 0
		.amdhsa_user_sgpr_flat_scratch_init 0
		.amdhsa_user_sgpr_private_segment_size 0
		.amdhsa_wavefront_size32 1
		.amdhsa_uses_dynamic_stack 0
		.amdhsa_system_sgpr_private_segment_wavefront_offset 0
		.amdhsa_system_sgpr_workgroup_id_x 1
		.amdhsa_system_sgpr_workgroup_id_y 1
		.amdhsa_system_sgpr_workgroup_id_z 0
		.amdhsa_system_sgpr_workgroup_info 0
		.amdhsa_system_vgpr_workitem_id 1
		.amdhsa_next_free_vgpr 14
		.amdhsa_next_free_sgpr 8
		.amdhsa_reserve_vcc 1
		.amdhsa_reserve_flat_scratch 0
		.amdhsa_float_round_mode_32 0
		.amdhsa_float_round_mode_16_64 0
		.amdhsa_float_denorm_mode_32 3
		.amdhsa_float_denorm_mode_16_64 3
		.amdhsa_dx10_clamp 1
		.amdhsa_ieee_mode 1
		.amdhsa_fp16_overflow 0
		.amdhsa_workgroup_processor_mode 1
		.amdhsa_memory_ordered 1
		.amdhsa_forward_progress 1
		.amdhsa_shared_vgpr_count 0
		.amdhsa_exception_fp_ieee_invalid_op 0
		.amdhsa_exception_fp_denorm_src 0
		.amdhsa_exception_fp_ieee_div_zero 0
		.amdhsa_exception_fp_ieee_overflow 0
		.amdhsa_exception_fp_ieee_underflow 0
		.amdhsa_exception_fp_ieee_inexact 0
		.amdhsa_exception_int_div_zero 0
	.end_amdhsa_kernel
	.text
.Lfunc_end0:
	.size	_Z9ccc_loop1PKiS0_PKdS2_S2_S2_PdiiPi, .Lfunc_end0-_Z9ccc_loop1PKiS0_PKdS2_S2_S2_PdiiPi
                                        ; -- End function
	.set _Z9ccc_loop1PKiS0_PKdS2_S2_S2_PdiiPi.num_vgpr, 14
	.set _Z9ccc_loop1PKiS0_PKdS2_S2_S2_PdiiPi.num_agpr, 0
	.set _Z9ccc_loop1PKiS0_PKdS2_S2_S2_PdiiPi.numbered_sgpr, 8
	.set _Z9ccc_loop1PKiS0_PKdS2_S2_S2_PdiiPi.num_named_barrier, 0
	.set _Z9ccc_loop1PKiS0_PKdS2_S2_S2_PdiiPi.private_seg_size, 0
	.set _Z9ccc_loop1PKiS0_PKdS2_S2_S2_PdiiPi.uses_vcc, 1
	.set _Z9ccc_loop1PKiS0_PKdS2_S2_S2_PdiiPi.uses_flat_scratch, 0
	.set _Z9ccc_loop1PKiS0_PKdS2_S2_S2_PdiiPi.has_dyn_sized_stack, 0
	.set _Z9ccc_loop1PKiS0_PKdS2_S2_S2_PdiiPi.has_recursion, 0
	.set _Z9ccc_loop1PKiS0_PKdS2_S2_S2_PdiiPi.has_indirect_call, 0
	.section	.AMDGPU.csdata,"",@progbits
; Kernel info:
; codeLenInByte = 280
; TotalNumSgprs: 10
; NumVgprs: 14
; ScratchSize: 0
; MemoryBound: 0
; FloatMode: 240
; IeeeMode: 1
; LDSByteSize: 0 bytes/workgroup (compile time only)
; SGPRBlocks: 0
; VGPRBlocks: 1
; NumSGPRsForWavesPerEU: 10
; NumVGPRsForWavesPerEU: 14
; Occupancy: 16
; WaveLimiterHint : 0
; COMPUTE_PGM_RSRC2:SCRATCH_EN: 0
; COMPUTE_PGM_RSRC2:USER_SGPR: 6
; COMPUTE_PGM_RSRC2:TRAP_HANDLER: 0
; COMPUTE_PGM_RSRC2:TGID_X_EN: 1
; COMPUTE_PGM_RSRC2:TGID_Y_EN: 1
; COMPUTE_PGM_RSRC2:TGID_Z_EN: 0
; COMPUTE_PGM_RSRC2:TIDIG_COMP_CNT: 1
	.text
	.protected	_Z11ccc_loop1_2PKdS0_S0_PdPKiiS3_S3_ii ; -- Begin function _Z11ccc_loop1_2PKdS0_S0_PdPKiiS3_S3_ii
	.globl	_Z11ccc_loop1_2PKdS0_S0_PdPKiiS3_S3_ii
	.p2align	8
	.type	_Z11ccc_loop1_2PKdS0_S0_PdPKiiS3_S3_ii,@function
_Z11ccc_loop1_2PKdS0_S0_PdPKiiS3_S3_ii: ; @_Z11ccc_loop1_2PKdS0_S0_PdPKiiS3_S3_ii
; %bb.0:
	s_clause 0x1
	s_load_dword s0, s[4:5], 0x54
	s_load_dword s1, s[4:5], 0x28
	s_waitcnt lgkmcnt(0)
	s_and_b32 s0, s0, 0xffff
	v_mad_u64_u32 v[0:1], null, s6, s0, v[0:1]
	s_mov_b32 s0, exec_lo
	v_cmpx_gt_i32_e64 s1, v0
	s_cbranch_execz .LBB1_6
; %bb.1:
	s_load_dwordx2 s[0:1], s[4:5], 0x20
	v_ashrrev_i32_e32 v1, 31, v0
	v_lshlrev_b64 v[2:3], 2, v[0:1]
	s_waitcnt lgkmcnt(0)
	v_add_co_u32 v0, vcc_lo, s0, v2
	v_add_co_ci_u32_e64 v1, null, s1, v3, vcc_lo
	s_mov_b32 s1, exec_lo
	global_load_dwordx2 v[4:5], v[0:1], off
	s_clause 0x1
	s_load_dwordx4 s[8:11], s[4:5], 0x10
	s_load_dwordx4 s[12:15], s[4:5], 0x30
	v_mov_b32_e32 v0, 0
	v_mov_b32_e32 v1, 0
	s_waitcnt vmcnt(0)
	v_cmpx_lt_i32_e64 v4, v5
	s_cbranch_execz .LBB1_5
; %bb.2:
	s_load_dwordx4 s[16:19], s[4:5], 0x0
	v_ashrrev_i32_e32 v1, 31, v4
	v_mov_b32_e32 v0, v4
	s_mov_b32 s2, 0
	v_lshlrev_b64 v[8:9], 3, v[0:1]
	v_mov_b32_e32 v0, 0
	v_mov_b32_e32 v1, 0
	s_waitcnt lgkmcnt(0)
	v_add_co_u32 v6, vcc_lo, s16, v8
	v_add_co_ci_u32_e64 v7, null, s17, v9, vcc_lo
	v_add_co_u32 v8, vcc_lo, s18, v8
	v_add_co_ci_u32_e64 v9, null, s19, v9, vcc_lo
	.p2align	6
.LBB1_3:                                ; =>This Inner Loop Header: Depth=1
	global_load_dwordx2 v[10:11], v[6:7], off
	global_load_dwordx2 v[12:13], v[8:9], off
	v_add_nc_u32_e32 v4, 1, v4
	v_add_co_u32 v6, vcc_lo, v6, 8
	v_add_co_ci_u32_e64 v7, null, 0, v7, vcc_lo
	v_cmp_ge_i32_e32 vcc_lo, v4, v5
	v_add_co_u32 v8, s0, v8, 8
	v_add_co_ci_u32_e64 v9, null, 0, v9, s0
	s_or_b32 s2, vcc_lo, s2
	s_waitcnt vmcnt(0)
	v_fma_f64 v[0:1], v[10:11], v[12:13], v[0:1]
	s_andn2_b32 exec_lo, exec_lo, s2
	s_cbranch_execnz .LBB1_3
; %bb.4:
	s_or_b32 exec_lo, exec_lo, s2
.LBB1_5:
	s_or_b32 exec_lo, exec_lo, s1
	s_waitcnt lgkmcnt(0)
	v_add_co_u32 v4, vcc_lo, s12, v2
	v_add_co_ci_u32_e64 v5, null, s13, v3, vcc_lo
	v_add_co_u32 v2, vcc_lo, s14, v2
	v_add_co_ci_u32_e64 v3, null, s15, v3, vcc_lo
	global_load_dword v4, v[4:5], off
	global_load_dword v2, v[2:3], off
	s_load_dword s0, s[4:5], 0x40
	s_waitcnt vmcnt(0) lgkmcnt(0)
	v_mad_u64_u32 v[2:3], null, v2, s0, v[4:5]
	v_ashrrev_i32_e32 v3, 31, v2
	v_lshlrev_b64 v[2:3], 3, v[2:3]
	v_add_co_u32 v4, vcc_lo, s8, v2
	v_add_co_ci_u32_e64 v5, null, s9, v3, vcc_lo
	global_load_dwordx2 v[4:5], v[4:5], off
	s_waitcnt vmcnt(0)
	v_div_scale_f64 v[6:7], null, v[4:5], v[4:5], v[0:1]
	v_rcp_f64_e32 v[8:9], v[6:7]
	v_fma_f64 v[10:11], -v[6:7], v[8:9], 1.0
	v_fma_f64 v[8:9], v[8:9], v[10:11], v[8:9]
	v_fma_f64 v[10:11], -v[6:7], v[8:9], 1.0
	v_fma_f64 v[8:9], v[8:9], v[10:11], v[8:9]
	v_div_scale_f64 v[10:11], vcc_lo, v[0:1], v[4:5], v[0:1]
	v_mul_f64 v[12:13], v[10:11], v[8:9]
	v_fma_f64 v[6:7], -v[6:7], v[12:13], v[10:11]
	v_div_fmas_f64 v[6:7], v[6:7], v[8:9], v[12:13]
	v_add_co_u32 v2, vcc_lo, s10, v2
	v_add_co_ci_u32_e64 v3, null, s11, v3, vcc_lo
	v_div_fixup_f64 v[0:1], v[6:7], v[4:5], v[0:1]
	global_store_dwordx2 v[2:3], v[0:1], off
.LBB1_6:
	s_endpgm
	.section	.rodata,"a",@progbits
	.p2align	6, 0x0
	.amdhsa_kernel _Z11ccc_loop1_2PKdS0_S0_PdPKiiS3_S3_ii
		.amdhsa_group_segment_fixed_size 0
		.amdhsa_private_segment_fixed_size 0
		.amdhsa_kernarg_size 328
		.amdhsa_user_sgpr_count 6
		.amdhsa_user_sgpr_private_segment_buffer 1
		.amdhsa_user_sgpr_dispatch_ptr 0
		.amdhsa_user_sgpr_queue_ptr 0
		.amdhsa_user_sgpr_kernarg_segment_ptr 1
		.amdhsa_user_sgpr_dispatch_id 0
		.amdhsa_user_sgpr_flat_scratch_init 0
		.amdhsa_user_sgpr_private_segment_size 0
		.amdhsa_wavefront_size32 1
		.amdhsa_uses_dynamic_stack 0
		.amdhsa_system_sgpr_private_segment_wavefront_offset 0
		.amdhsa_system_sgpr_workgroup_id_x 1
		.amdhsa_system_sgpr_workgroup_id_y 0
		.amdhsa_system_sgpr_workgroup_id_z 0
		.amdhsa_system_sgpr_workgroup_info 0
		.amdhsa_system_vgpr_workitem_id 0
		.amdhsa_next_free_vgpr 14
		.amdhsa_next_free_sgpr 20
		.amdhsa_reserve_vcc 1
		.amdhsa_reserve_flat_scratch 0
		.amdhsa_float_round_mode_32 0
		.amdhsa_float_round_mode_16_64 0
		.amdhsa_float_denorm_mode_32 3
		.amdhsa_float_denorm_mode_16_64 3
		.amdhsa_dx10_clamp 1
		.amdhsa_ieee_mode 1
		.amdhsa_fp16_overflow 0
		.amdhsa_workgroup_processor_mode 1
		.amdhsa_memory_ordered 1
		.amdhsa_forward_progress 1
		.amdhsa_shared_vgpr_count 0
		.amdhsa_exception_fp_ieee_invalid_op 0
		.amdhsa_exception_fp_denorm_src 0
		.amdhsa_exception_fp_ieee_div_zero 0
		.amdhsa_exception_fp_ieee_overflow 0
		.amdhsa_exception_fp_ieee_underflow 0
		.amdhsa_exception_fp_ieee_inexact 0
		.amdhsa_exception_int_div_zero 0
	.end_amdhsa_kernel
	.text
.Lfunc_end1:
	.size	_Z11ccc_loop1_2PKdS0_S0_PdPKiiS3_S3_ii, .Lfunc_end1-_Z11ccc_loop1_2PKdS0_S0_PdPKiiS3_S3_ii
                                        ; -- End function
	.set _Z11ccc_loop1_2PKdS0_S0_PdPKiiS3_S3_ii.num_vgpr, 14
	.set _Z11ccc_loop1_2PKdS0_S0_PdPKiiS3_S3_ii.num_agpr, 0
	.set _Z11ccc_loop1_2PKdS0_S0_PdPKiiS3_S3_ii.numbered_sgpr, 20
	.set _Z11ccc_loop1_2PKdS0_S0_PdPKiiS3_S3_ii.num_named_barrier, 0
	.set _Z11ccc_loop1_2PKdS0_S0_PdPKiiS3_S3_ii.private_seg_size, 0
	.set _Z11ccc_loop1_2PKdS0_S0_PdPKiiS3_S3_ii.uses_vcc, 1
	.set _Z11ccc_loop1_2PKdS0_S0_PdPKiiS3_S3_ii.uses_flat_scratch, 0
	.set _Z11ccc_loop1_2PKdS0_S0_PdPKiiS3_S3_ii.has_dyn_sized_stack, 0
	.set _Z11ccc_loop1_2PKdS0_S0_PdPKiiS3_S3_ii.has_recursion, 0
	.set _Z11ccc_loop1_2PKdS0_S0_PdPKiiS3_S3_ii.has_indirect_call, 0
	.section	.AMDGPU.csdata,"",@progbits
; Kernel info:
; codeLenInByte = 568
; TotalNumSgprs: 22
; NumVgprs: 14
; ScratchSize: 0
; MemoryBound: 0
; FloatMode: 240
; IeeeMode: 1
; LDSByteSize: 0 bytes/workgroup (compile time only)
; SGPRBlocks: 0
; VGPRBlocks: 1
; NumSGPRsForWavesPerEU: 22
; NumVGPRsForWavesPerEU: 14
; Occupancy: 16
; WaveLimiterHint : 1
; COMPUTE_PGM_RSRC2:SCRATCH_EN: 0
; COMPUTE_PGM_RSRC2:USER_SGPR: 6
; COMPUTE_PGM_RSRC2:TRAP_HANDLER: 0
; COMPUTE_PGM_RSRC2:TGID_X_EN: 1
; COMPUTE_PGM_RSRC2:TGID_Y_EN: 0
; COMPUTE_PGM_RSRC2:TGID_Z_EN: 0
; COMPUTE_PGM_RSRC2:TIDIG_COMP_CNT: 0
	.text
	.protected	_Z9ccc_loop2PKiS0_S0_PKdS2_S2_S2_S2_S2_PdS3_iiPi ; -- Begin function _Z9ccc_loop2PKiS0_S0_PKdS2_S2_S2_S2_S2_PdS3_iiPi
	.globl	_Z9ccc_loop2PKiS0_S0_PKdS2_S2_S2_S2_S2_PdS3_iiPi
	.p2align	8
	.type	_Z9ccc_loop2PKiS0_S0_PKdS2_S2_S2_S2_S2_PdS3_iiPi,@function
_Z9ccc_loop2PKiS0_S0_PKdS2_S2_S2_S2_S2_PdS3_iiPi: ; @_Z9ccc_loop2PKiS0_S0_PKdS2_S2_S2_S2_S2_PdS3_iiPi
; %bb.0:
	s_clause 0x1
	s_load_dword s0, s[4:5], 0x74
	s_load_dwordx2 s[2:3], s[4:5], 0x58
	s_waitcnt lgkmcnt(0)
	s_lshr_b32 s1, s0, 16
	s_and_b32 s0, s0, 0xffff
	v_mad_u64_u32 v[2:3], null, s6, s0, v[0:1]
	v_mad_u64_u32 v[0:1], null, s7, s1, v[1:2]
	v_cmp_gt_i32_e32 vcc_lo, s2, v2
	v_cmp_gt_i32_e64 s0, s3, v0
	s_and_b32 s0, vcc_lo, s0
	s_and_saveexec_b32 s1, s0
	s_cbranch_execz .LBB2_3
; %bb.1:
	s_load_dwordx2 s[0:1], s[4:5], 0x0
	v_mad_u64_u32 v[0:1], null, v0, s2, v[2:3]
	v_ashrrev_i32_e32 v1, 31, v0
	v_lshlrev_b64 v[2:3], 2, v[0:1]
	s_waitcnt lgkmcnt(0)
	v_add_co_u32 v2, vcc_lo, s0, v2
	v_add_co_ci_u32_e64 v3, null, s1, v3, vcc_lo
	global_load_dword v2, v[2:3], off
	s_waitcnt vmcnt(0)
	v_cmp_lt_i32_e32 vcc_lo, 0, v2
	s_and_b32 exec_lo, exec_lo, vcc_lo
	s_cbranch_execz .LBB2_3
; %bb.2:
	s_clause 0x1
	s_load_dwordx4 s[0:3], s[4:5], 0x40
	s_load_dwordx2 s[6:7], s[4:5], 0x18
	v_mov_b32_e32 v3, 0
	v_lshlrev_b64 v[0:1], 3, v[0:1]
	s_load_dwordx2 s[4:5], s[4:5], 0x28
	v_lshlrev_b64 v[2:3], 3, v[2:3]
	s_waitcnt lgkmcnt(0)
	v_add_co_u32 v2, vcc_lo, s0, v2
	v_add_co_ci_u32_e64 v3, null, s1, v3, vcc_lo
	v_add_co_u32 v4, vcc_lo, s6, v0
	v_add_co_ci_u32_e64 v5, null, s7, v1, vcc_lo
	global_load_dwordx2 v[2:3], v[2:3], off offset:-8
	global_load_dwordx2 v[4:5], v[4:5], off
	v_add_co_u32 v6, vcc_lo, s4, v0
	v_add_co_ci_u32_e64 v7, null, s5, v1, vcc_lo
	v_add_co_u32 v0, vcc_lo, s2, v0
	v_add_co_ci_u32_e64 v1, null, s3, v1, vcc_lo
	global_load_dwordx2 v[6:7], v[6:7], off
	s_waitcnt vmcnt(1)
	v_mul_f64 v[2:3], v[2:3], v[4:5]
	s_waitcnt vmcnt(0)
	v_mul_f64 v[2:3], v[2:3], v[6:7]
	global_store_dwordx2 v[0:1], v[2:3], off
.LBB2_3:
	s_endpgm
	.section	.rodata,"a",@progbits
	.p2align	6, 0x0
	.amdhsa_kernel _Z9ccc_loop2PKiS0_S0_PKdS2_S2_S2_S2_S2_PdS3_iiPi
		.amdhsa_group_segment_fixed_size 0
		.amdhsa_private_segment_fixed_size 0
		.amdhsa_kernarg_size 360
		.amdhsa_user_sgpr_count 6
		.amdhsa_user_sgpr_private_segment_buffer 1
		.amdhsa_user_sgpr_dispatch_ptr 0
		.amdhsa_user_sgpr_queue_ptr 0
		.amdhsa_user_sgpr_kernarg_segment_ptr 1
		.amdhsa_user_sgpr_dispatch_id 0
		.amdhsa_user_sgpr_flat_scratch_init 0
		.amdhsa_user_sgpr_private_segment_size 0
		.amdhsa_wavefront_size32 1
		.amdhsa_uses_dynamic_stack 0
		.amdhsa_system_sgpr_private_segment_wavefront_offset 0
		.amdhsa_system_sgpr_workgroup_id_x 1
		.amdhsa_system_sgpr_workgroup_id_y 1
		.amdhsa_system_sgpr_workgroup_id_z 0
		.amdhsa_system_sgpr_workgroup_info 0
		.amdhsa_system_vgpr_workitem_id 1
		.amdhsa_next_free_vgpr 8
		.amdhsa_next_free_sgpr 8
		.amdhsa_reserve_vcc 1
		.amdhsa_reserve_flat_scratch 0
		.amdhsa_float_round_mode_32 0
		.amdhsa_float_round_mode_16_64 0
		.amdhsa_float_denorm_mode_32 3
		.amdhsa_float_denorm_mode_16_64 3
		.amdhsa_dx10_clamp 1
		.amdhsa_ieee_mode 1
		.amdhsa_fp16_overflow 0
		.amdhsa_workgroup_processor_mode 1
		.amdhsa_memory_ordered 1
		.amdhsa_forward_progress 1
		.amdhsa_shared_vgpr_count 0
		.amdhsa_exception_fp_ieee_invalid_op 0
		.amdhsa_exception_fp_denorm_src 0
		.amdhsa_exception_fp_ieee_div_zero 0
		.amdhsa_exception_fp_ieee_overflow 0
		.amdhsa_exception_fp_ieee_underflow 0
		.amdhsa_exception_fp_ieee_inexact 0
		.amdhsa_exception_int_div_zero 0
	.end_amdhsa_kernel
	.text
.Lfunc_end2:
	.size	_Z9ccc_loop2PKiS0_S0_PKdS2_S2_S2_S2_S2_PdS3_iiPi, .Lfunc_end2-_Z9ccc_loop2PKiS0_S0_PKdS2_S2_S2_S2_S2_PdS3_iiPi
                                        ; -- End function
	.set _Z9ccc_loop2PKiS0_S0_PKdS2_S2_S2_S2_S2_PdS3_iiPi.num_vgpr, 8
	.set _Z9ccc_loop2PKiS0_S0_PKdS2_S2_S2_S2_S2_PdS3_iiPi.num_agpr, 0
	.set _Z9ccc_loop2PKiS0_S0_PKdS2_S2_S2_S2_S2_PdS3_iiPi.numbered_sgpr, 8
	.set _Z9ccc_loop2PKiS0_S0_PKdS2_S2_S2_S2_S2_PdS3_iiPi.num_named_barrier, 0
	.set _Z9ccc_loop2PKiS0_S0_PKdS2_S2_S2_S2_S2_PdS3_iiPi.private_seg_size, 0
	.set _Z9ccc_loop2PKiS0_S0_PKdS2_S2_S2_S2_S2_PdS3_iiPi.uses_vcc, 1
	.set _Z9ccc_loop2PKiS0_S0_PKdS2_S2_S2_S2_S2_PdS3_iiPi.uses_flat_scratch, 0
	.set _Z9ccc_loop2PKiS0_S0_PKdS2_S2_S2_S2_S2_PdS3_iiPi.has_dyn_sized_stack, 0
	.set _Z9ccc_loop2PKiS0_S0_PKdS2_S2_S2_S2_S2_PdS3_iiPi.has_recursion, 0
	.set _Z9ccc_loop2PKiS0_S0_PKdS2_S2_S2_S2_S2_PdS3_iiPi.has_indirect_call, 0
	.section	.AMDGPU.csdata,"",@progbits
; Kernel info:
; codeLenInByte = 324
; TotalNumSgprs: 10
; NumVgprs: 8
; ScratchSize: 0
; MemoryBound: 0
; FloatMode: 240
; IeeeMode: 1
; LDSByteSize: 0 bytes/workgroup (compile time only)
; SGPRBlocks: 0
; VGPRBlocks: 0
; NumSGPRsForWavesPerEU: 10
; NumVGPRsForWavesPerEU: 8
; Occupancy: 16
; WaveLimiterHint : 1
; COMPUTE_PGM_RSRC2:SCRATCH_EN: 0
; COMPUTE_PGM_RSRC2:USER_SGPR: 6
; COMPUTE_PGM_RSRC2:TRAP_HANDLER: 0
; COMPUTE_PGM_RSRC2:TGID_X_EN: 1
; COMPUTE_PGM_RSRC2:TGID_Y_EN: 1
; COMPUTE_PGM_RSRC2:TGID_Z_EN: 0
; COMPUTE_PGM_RSRC2:TIDIG_COMP_CNT: 1
	.text
	.protected	_Z11ccc_loop2_2PKiPKdS2_S2_S2_PdPii ; -- Begin function _Z11ccc_loop2_2PKiPKdS2_S2_S2_PdPii
	.globl	_Z11ccc_loop2_2PKiPKdS2_S2_S2_PdPii
	.p2align	8
	.type	_Z11ccc_loop2_2PKiPKdS2_S2_S2_PdPii,@function
_Z11ccc_loop2_2PKiPKdS2_S2_S2_PdPii:    ; @_Z11ccc_loop2_2PKiPKdS2_S2_S2_PdPii
; %bb.0:
	s_clause 0x1
	s_load_dword s0, s[4:5], 0x4c
	s_load_dword s1, s[4:5], 0x38
	s_waitcnt lgkmcnt(0)
	s_and_b32 s0, s0, 0xffff
	v_mad_u64_u32 v[0:1], null, s6, s0, v[0:1]
	s_mov_b32 s0, exec_lo
	v_cmpx_gt_i32_e64 s1, v0
	s_cbranch_execz .LBB3_2
; %bb.1:
	s_load_dwordx8 s[8:15], s[4:5], 0x0
	v_ashrrev_i32_e32 v1, 31, v0
	s_load_dwordx4 s[0:3], s[4:5], 0x20
	v_lshlrev_b64 v[2:3], 2, v[0:1]
	v_lshlrev_b64 v[0:1], 3, v[0:1]
	s_waitcnt lgkmcnt(0)
	v_add_co_u32 v2, vcc_lo, s8, v2
	v_add_co_ci_u32_e64 v3, null, s9, v3, vcc_lo
	v_add_co_u32 v4, vcc_lo, s10, v0
	v_add_co_ci_u32_e64 v5, null, s11, v1, vcc_lo
	global_load_dword v2, v[2:3], off
	s_waitcnt vmcnt(0)
	v_ashrrev_i32_e32 v3, 31, v2
	v_lshlrev_b64 v[2:3], 3, v[2:3]
	v_add_co_u32 v2, vcc_lo, s0, v2
	v_add_co_ci_u32_e64 v3, null, s1, v3, vcc_lo
	v_add_co_u32 v6, vcc_lo, s12, v0
	global_load_dwordx2 v[4:5], v[4:5], off
	global_load_dwordx2 v[2:3], v[2:3], off
	v_add_co_ci_u32_e64 v7, null, s13, v1, vcc_lo
	v_add_co_u32 v8, vcc_lo, s14, v0
	v_add_co_ci_u32_e64 v9, null, s15, v1, vcc_lo
	global_load_dwordx2 v[6:7], v[6:7], off
	global_load_dwordx2 v[8:9], v[8:9], off
	s_waitcnt vmcnt(2)
	v_mul_f64 v[2:3], v[2:3], v[4:5]
	s_waitcnt vmcnt(1)
	v_mul_f64 v[2:3], v[2:3], v[6:7]
	s_waitcnt vmcnt(0)
	v_div_scale_f64 v[4:5], null, v[8:9], v[8:9], v[2:3]
	v_rcp_f64_e32 v[6:7], v[4:5]
	v_fma_f64 v[10:11], -v[4:5], v[6:7], 1.0
	v_fma_f64 v[6:7], v[6:7], v[10:11], v[6:7]
	v_fma_f64 v[10:11], -v[4:5], v[6:7], 1.0
	v_fma_f64 v[6:7], v[6:7], v[10:11], v[6:7]
	v_div_scale_f64 v[10:11], vcc_lo, v[2:3], v[8:9], v[2:3]
	v_mul_f64 v[12:13], v[10:11], v[6:7]
	v_fma_f64 v[4:5], -v[4:5], v[12:13], v[10:11]
	v_div_fmas_f64 v[4:5], v[4:5], v[6:7], v[12:13]
	v_add_co_u32 v0, vcc_lo, s2, v0
	v_add_co_ci_u32_e64 v1, null, s3, v1, vcc_lo
	v_div_fixup_f64 v[2:3], v[4:5], v[8:9], v[2:3]
	global_store_dwordx2 v[0:1], v[2:3], off
.LBB3_2:
	s_endpgm
	.section	.rodata,"a",@progbits
	.p2align	6, 0x0
	.amdhsa_kernel _Z11ccc_loop2_2PKiPKdS2_S2_S2_PdPii
		.amdhsa_group_segment_fixed_size 0
		.amdhsa_private_segment_fixed_size 0
		.amdhsa_kernarg_size 320
		.amdhsa_user_sgpr_count 6
		.amdhsa_user_sgpr_private_segment_buffer 1
		.amdhsa_user_sgpr_dispatch_ptr 0
		.amdhsa_user_sgpr_queue_ptr 0
		.amdhsa_user_sgpr_kernarg_segment_ptr 1
		.amdhsa_user_sgpr_dispatch_id 0
		.amdhsa_user_sgpr_flat_scratch_init 0
		.amdhsa_user_sgpr_private_segment_size 0
		.amdhsa_wavefront_size32 1
		.amdhsa_uses_dynamic_stack 0
		.amdhsa_system_sgpr_private_segment_wavefront_offset 0
		.amdhsa_system_sgpr_workgroup_id_x 1
		.amdhsa_system_sgpr_workgroup_id_y 0
		.amdhsa_system_sgpr_workgroup_id_z 0
		.amdhsa_system_sgpr_workgroup_info 0
		.amdhsa_system_vgpr_workitem_id 0
		.amdhsa_next_free_vgpr 14
		.amdhsa_next_free_sgpr 16
		.amdhsa_reserve_vcc 1
		.amdhsa_reserve_flat_scratch 0
		.amdhsa_float_round_mode_32 0
		.amdhsa_float_round_mode_16_64 0
		.amdhsa_float_denorm_mode_32 3
		.amdhsa_float_denorm_mode_16_64 3
		.amdhsa_dx10_clamp 1
		.amdhsa_ieee_mode 1
		.amdhsa_fp16_overflow 0
		.amdhsa_workgroup_processor_mode 1
		.amdhsa_memory_ordered 1
		.amdhsa_forward_progress 1
		.amdhsa_shared_vgpr_count 0
		.amdhsa_exception_fp_ieee_invalid_op 0
		.amdhsa_exception_fp_denorm_src 0
		.amdhsa_exception_fp_ieee_div_zero 0
		.amdhsa_exception_fp_ieee_overflow 0
		.amdhsa_exception_fp_ieee_underflow 0
		.amdhsa_exception_fp_ieee_inexact 0
		.amdhsa_exception_int_div_zero 0
	.end_amdhsa_kernel
	.text
.Lfunc_end3:
	.size	_Z11ccc_loop2_2PKiPKdS2_S2_S2_PdPii, .Lfunc_end3-_Z11ccc_loop2_2PKiPKdS2_S2_S2_PdPii
                                        ; -- End function
	.set _Z11ccc_loop2_2PKiPKdS2_S2_S2_PdPii.num_vgpr, 14
	.set _Z11ccc_loop2_2PKiPKdS2_S2_S2_PdPii.num_agpr, 0
	.set _Z11ccc_loop2_2PKiPKdS2_S2_S2_PdPii.numbered_sgpr, 16
	.set _Z11ccc_loop2_2PKiPKdS2_S2_S2_PdPii.num_named_barrier, 0
	.set _Z11ccc_loop2_2PKiPKdS2_S2_S2_PdPii.private_seg_size, 0
	.set _Z11ccc_loop2_2PKiPKdS2_S2_S2_PdPii.uses_vcc, 1
	.set _Z11ccc_loop2_2PKiPKdS2_S2_S2_PdPii.uses_flat_scratch, 0
	.set _Z11ccc_loop2_2PKiPKdS2_S2_S2_PdPii.has_dyn_sized_stack, 0
	.set _Z11ccc_loop2_2PKiPKdS2_S2_S2_PdPii.has_recursion, 0
	.set _Z11ccc_loop2_2PKiPKdS2_S2_S2_PdPii.has_indirect_call, 0
	.section	.AMDGPU.csdata,"",@progbits
; Kernel info:
; codeLenInByte = 372
; TotalNumSgprs: 18
; NumVgprs: 14
; ScratchSize: 0
; MemoryBound: 0
; FloatMode: 240
; IeeeMode: 1
; LDSByteSize: 0 bytes/workgroup (compile time only)
; SGPRBlocks: 0
; VGPRBlocks: 1
; NumSGPRsForWavesPerEU: 18
; NumVGPRsForWavesPerEU: 14
; Occupancy: 16
; WaveLimiterHint : 1
; COMPUTE_PGM_RSRC2:SCRATCH_EN: 0
; COMPUTE_PGM_RSRC2:USER_SGPR: 6
; COMPUTE_PGM_RSRC2:TRAP_HANDLER: 0
; COMPUTE_PGM_RSRC2:TGID_X_EN: 1
; COMPUTE_PGM_RSRC2:TGID_Y_EN: 0
; COMPUTE_PGM_RSRC2:TGID_Z_EN: 0
; COMPUTE_PGM_RSRC2:TIDIG_COMP_CNT: 0
	.text
	.protected	_Z9ccc_loop3PKiS0_S0_PKdS2_PdS3_S2_S2_iiPi ; -- Begin function _Z9ccc_loop3PKiS0_S0_PKdS2_PdS3_S2_S2_iiPi
	.globl	_Z9ccc_loop3PKiS0_S0_PKdS2_PdS3_S2_S2_iiPi
	.p2align	8
	.type	_Z9ccc_loop3PKiS0_S0_PKdS2_PdS3_S2_S2_iiPi,@function
_Z9ccc_loop3PKiS0_S0_PKdS2_PdS3_S2_S2_iiPi: ; @_Z9ccc_loop3PKiS0_S0_PKdS2_PdS3_S2_S2_iiPi
; %bb.0:
	s_clause 0x1
	s_load_dword s0, s[4:5], 0x64
	s_load_dwordx2 s[8:9], s[4:5], 0x48
	s_waitcnt lgkmcnt(0)
	s_and_b32 s1, s0, 0xffff
	v_mad_u64_u32 v[24:25], null, s6, s1, v[0:1]
	s_add_i32 s1, s8, -1
	v_cmp_gt_i32_e32 vcc_lo, s1, v24
	s_and_saveexec_b32 s1, vcc_lo
	s_cbranch_execz .LBB4_238
; %bb.1:
	s_lshr_b32 s0, s0, 16
	v_mad_u64_u32 v[0:1], null, s7, s0, v[1:2]
	s_add_i32 s0, s9, -1
	v_min_i32_e32 v1, v24, v0
	v_cmp_gt_i32_e32 vcc_lo, s0, v0
	v_cmp_lt_i32_e64 s0, 0, v1
	s_and_b32 s0, s0, vcc_lo
	s_and_b32 exec_lo, exec_lo, s0
	s_cbranch_execz .LBB4_238
; %bb.2:
	v_mul_lo_u32 v48, v0, s8
	s_clause 0x2
	s_load_dwordx4 s[0:3], s[4:5], 0x38
	s_load_dwordx2 s[10:11], s[4:5], 0x20
	s_load_dwordx4 s[12:15], s[4:5], 0x10
	v_subrev_nc_u32_e32 v29, s8, v48
	v_add_nc_u32_e32 v22, v48, v24
	v_add_nc_u32_e32 v25, v29, v24
	v_lshl_add_u32 v47, s8, 1, v29
	v_ashrrev_i32_e32 v23, 31, v22
	v_add_nc_u32_e32 v40, -1, v22
	s_load_dwordx2 s[8:9], s[4:5], 0x50
	v_add_nc_u32_e32 v42, -1, v25
	v_ashrrev_i32_e32 v26, 31, v25
	v_add_nc_u32_e32 v20, v47, v24
	v_lshlrev_b64 v[16:17], 3, v[22:23]
	v_ashrrev_i32_e32 v41, 31, v40
	v_ashrrev_i32_e32 v43, 31, v42
	v_lshlrev_b64 v[27:28], 3, v[25:26]
	v_ashrrev_i32_e32 v21, 31, v20
	v_add_nc_u32_e32 v38, -1, v20
	s_waitcnt lgkmcnt(0)
	v_add_co_u32 v0, vcc_lo, s0, v16
	v_lshlrev_b64 v[34:35], 3, v[42:43]
	v_add_co_ci_u32_e64 v1, null, s1, v17, vcc_lo
	v_add_co_u32 v8, vcc_lo, s2, v16
	v_add_co_ci_u32_e64 v9, null, s3, v17, vcc_lo
	v_add_co_u32 v4, vcc_lo, s0, v27
	v_lshlrev_b64 v[30:31], 3, v[20:21]
	v_ashrrev_i32_e32 v39, 31, v38
	v_lshlrev_b64 v[32:33], 3, v[40:41]
	v_add_co_ci_u32_e64 v5, null, s1, v28, vcc_lo
	v_add_co_u32 v18, vcc_lo, s0, v34
	v_add_co_ci_u32_e64 v19, null, s1, v35, vcc_lo
	v_add_co_u32 v12, vcc_lo, s2, v27
	v_lshlrev_b64 v[36:37], 3, v[38:39]
	v_add_co_ci_u32_e64 v13, null, s3, v28, vcc_lo
	v_add_co_u32 v44, vcc_lo, s2, v30
	v_add_co_ci_u32_e64 v45, null, s3, v31, vcc_lo
	v_add_co_u32 v53, vcc_lo, s2, v32
	;; [unrolled: 2-line block ×4, first 2 shown]
	v_add_co_ci_u32_e64 v58, null, s3, v37, vcc_lo
	s_clause 0x1
	global_load_dwordx4 v[0:3], v[0:1], off
	global_load_dwordx4 v[4:7], v[4:5], off
	s_clause 0x5
	global_load_dwordx4 v[8:11], v[8:9], off
	global_load_dwordx4 v[12:15], v[12:13], off
	;; [unrolled: 1-line block ×3, first 2 shown]
	global_load_dwordx2 v[59:60], v[53:54], off
	global_load_dwordx2 v[61:62], v[55:56], off
	;; [unrolled: 1-line block ×3, first 2 shown]
	v_add_co_u32 v44, vcc_lo, s0, v32
	v_add_co_ci_u32_e64 v45, null, s1, v33, vcc_lo
	v_add_co_u32 v53, vcc_lo, s0, v30
	v_add_co_ci_u32_e64 v54, null, s1, v31, vcc_lo
	;; [unrolled: 2-line block ×3, first 2 shown]
	s_clause 0x3
	global_load_dwordx2 v[65:66], v[44:45], off
	global_load_dwordx4 v[53:56], v[53:54], off
	global_load_dwordx2 v[18:19], v[18:19], off
	global_load_dwordx2 v[63:64], v[63:64], off
	s_load_dwordx2 s[2:3], s[4:5], 0x0
	v_lshlrev_b64 v[44:45], 2, v[22:23]
	s_mov_b32 s0, exec_lo
	s_waitcnt lgkmcnt(0)
	v_add_co_u32 v44, vcc_lo, s2, v44
	v_add_co_ci_u32_e64 v45, null, s3, v45, vcc_lo
	global_load_dword v46, v[44:45], off
	s_waitcnt vmcnt(12)
	v_add_f64 v[2:3], v[0:1], -v[2:3]
	s_waitcnt vmcnt(11)
	v_add_f64 v[4:5], v[0:1], -v[4:5]
	;; [unrolled: 2-line block ×3, first 2 shown]
	v_add_f64 v[10:11], v[8:9], -v[10:11]
	s_waitcnt vmcnt(9)
	v_add_f64 v[12:13], v[8:9], -v[12:13]
	v_add_f64 v[14:15], v[8:9], -v[14:15]
	s_waitcnt vmcnt(7)
	v_add_f64 v[59:60], v[8:9], -v[59:60]
	s_waitcnt vmcnt(6)
	v_add_f64 v[61:62], v[8:9], -v[61:62]
	v_add_f64 v[49:50], v[8:9], -v[49:50]
	s_waitcnt vmcnt(5)
	v_add_f64 v[57:58], v[8:9], -v[57:58]
	v_add_f64 v[8:9], v[8:9], -v[51:52]
	;; [unrolled: 1-line block ×4, first 2 shown]
	s_waitcnt vmcnt(4)
	v_add_f64 v[65:66], v[0:1], -v[65:66]
	s_waitcnt vmcnt(3)
	v_add_f64 v[53:54], v[0:1], -v[53:54]
	v_add_f64 v[55:56], v[0:1], -v[55:56]
	s_waitcnt vmcnt(2)
	v_add_f64 v[18:19], v[0:1], -v[18:19]
	s_waitcnt vmcnt(1)
	v_add_f64 v[0:1], v[0:1], -v[63:64]
	v_mul_f64 v[6:7], v[67:68], v[67:68]
	v_mul_f64 v[10:11], v[10:11], v[10:11]
	;; [unrolled: 1-line block ×9, first 2 shown]
	v_fma_f64 v[8:9], v[51:52], v[51:52], v[6:7]
	v_fma_f64 v[6:7], v[2:3], v[2:3], v[10:11]
	;; [unrolled: 1-line block ×9, first 2 shown]
	s_waitcnt vmcnt(0)
	v_cmpx_lt_i32_e32 0, v46
	s_xor_b32 s1, exec_lo, s0
	s_cbranch_execz .LBB4_116
; %bb.3:
	v_add_nc_u32_e32 v21, -1, v24
	v_mov_b32_e32 v24, 0
	s_mov_b32 s0, exec_lo
	v_add_nc_u32_e32 v23, v21, v29
	v_lshlrev_b64 v[26:27], 2, v[23:24]
	v_add_co_u32 v26, vcc_lo, s2, v26
	v_add_co_ci_u32_e64 v27, null, s3, v27, vcc_lo
	global_load_dword v26, v[26:27], off
                                        ; implicit-def: $vgpr27_vgpr28
	s_waitcnt vmcnt(0)
	v_cmpx_lt_i32_e32 0, v26
	s_xor_b32 s0, exec_lo, s0
	s_cbranch_execz .LBB4_7
; %bb.4:
	v_mov_b32_e32 v27, 0
	v_mov_b32_e32 v28, 0
	s_mov_b32 s6, exec_lo
	v_cmpx_eq_u32_e64 v46, v26
	s_cbranch_execz .LBB4_6
; %bb.5:
	v_lshlrev_b64 v[23:24], 3, v[23:24]
	v_add_co_u32 v23, vcc_lo, s14, v23
	v_add_co_ci_u32_e64 v24, null, s15, v24, vcc_lo
	global_load_dwordx2 v[23:24], v[23:24], off
	s_waitcnt vmcnt(0)
	v_div_scale_f64 v[26:27], null, v[18:19], v[18:19], v[23:24]
	v_rcp_f64_e32 v[28:29], v[26:27]
	v_fma_f64 v[30:31], -v[26:27], v[28:29], 1.0
	v_fma_f64 v[28:29], v[28:29], v[30:31], v[28:29]
	v_fma_f64 v[30:31], -v[26:27], v[28:29], 1.0
	v_fma_f64 v[28:29], v[28:29], v[30:31], v[28:29]
	v_div_scale_f64 v[30:31], vcc_lo, v[23:24], v[18:19], v[23:24]
	v_mul_f64 v[32:33], v[30:31], v[28:29]
	v_fma_f64 v[26:27], -v[26:27], v[32:33], v[30:31]
	v_div_fmas_f64 v[26:27], v[26:27], v[28:29], v[32:33]
	v_div_fixup_f64 v[18:19], v[26:27], v[18:19], v[23:24]
	v_mov_b32_e32 v24, 1
	v_add_f64 v[27:28], v[18:19], 0
.LBB4_6:
	s_or_b32 exec_lo, exec_lo, s6
                                        ; implicit-def: $vgpr26
                                        ; implicit-def: $vgpr18_vgpr19
.LBB4_7:
	s_or_saveexec_b32 s6, s0
	v_add_nc_u32_e32 v35, -1, v46
	s_xor_b32 exec_lo, exec_lo, s6
	s_cbranch_execz .LBB4_17
; %bb.8:
	v_sub_nc_u32_e32 v27, 1, v26
	v_mov_b32_e32 v24, 0
	v_sub_nc_u32_e32 v23, 0, v26
	s_mov_b32 s7, exec_lo
	v_ashrrev_i32_e32 v28, 31, v27
	v_lshlrev_b64 v[29:30], 2, v[23:24]
	v_lshlrev_b64 v[26:27], 2, v[27:28]
	v_add_co_u32 v28, vcc_lo, s8, v29
	v_add_co_ci_u32_e64 v29, null, s9, v30, vcc_lo
	v_add_co_u32 v26, vcc_lo, s8, v26
	v_add_co_ci_u32_e64 v27, null, s9, v27, vcc_lo
	s_clause 0x1
	global_load_dword v23, v[28:29], off
	global_load_dword v31, v[26:27], off
	v_mov_b32_e32 v27, 0
	v_mov_b32_e32 v28, 0
	s_waitcnt vmcnt(0)
	v_cmpx_lt_i32_e64 v23, v31
	s_cbranch_execz .LBB4_16
; %bb.9:
	v_ashrrev_i32_e32 v24, 31, v23
	s_mov_b32 s17, 0
                                        ; implicit-def: $sgpr16
                                        ; implicit-def: $sgpr19
                                        ; implicit-def: $sgpr18
	v_lshlrev_b64 v[26:27], 2, v[23:24]
	v_add_co_u32 v26, vcc_lo, s12, v26
	v_add_co_ci_u32_e64 v27, null, s13, v27, vcc_lo
	s_inst_prefetch 0x1
	s_branch .LBB4_11
	.p2align	6
.LBB4_10:                               ;   in Loop: Header=BB4_11 Depth=1
	s_or_b32 exec_lo, exec_lo, s20
	s_and_b32 s0, exec_lo, s19
	s_or_b32 s17, s0, s17
	s_andn2_b32 s0, s16, exec_lo
	s_and_b32 s16, s18, exec_lo
	s_or_b32 s16, s0, s16
	s_andn2_b32 exec_lo, exec_lo, s17
	s_cbranch_execz .LBB4_13
.LBB4_11:                               ; =>This Inner Loop Header: Depth=1
	global_load_dword v28, v[26:27], off
	v_mov_b32_e32 v30, v24
	v_mov_b32_e32 v29, v23
	s_or_b32 s18, s18, exec_lo
	s_or_b32 s19, s19, exec_lo
	s_mov_b32 s20, exec_lo
                                        ; implicit-def: $vgpr23_vgpr24
	s_waitcnt vmcnt(0)
	v_cmpx_ne_u32_e64 v28, v35
	s_cbranch_execz .LBB4_10
; %bb.12:                               ;   in Loop: Header=BB4_11 Depth=1
	v_add_co_u32 v23, vcc_lo, v29, 1
	v_add_co_ci_u32_e64 v24, null, 0, v30, vcc_lo
	v_add_co_u32 v26, s0, v26, 4
	v_cmp_ge_i32_e32 vcc_lo, v23, v31
	v_add_co_ci_u32_e64 v27, null, 0, v27, s0
	s_andn2_b32 s0, s19, exec_lo
	s_andn2_b32 s18, s18, exec_lo
	s_and_b32 s19, vcc_lo, exec_lo
	s_or_b32 s19, s0, s19
	s_branch .LBB4_10
.LBB4_13:
	s_inst_prefetch 0x2
	s_or_b32 exec_lo, exec_lo, s17
	v_mov_b32_e32 v27, 0
	v_mov_b32_e32 v28, 0
	;; [unrolled: 1-line block ×3, first 2 shown]
	s_and_saveexec_b32 s0, s16
	s_xor_b32 s0, exec_lo, s0
	s_cbranch_execz .LBB4_15
; %bb.14:
	v_lshlrev_b64 v[23:24], 3, v[29:30]
	v_add_co_u32 v23, vcc_lo, s10, v23
	v_add_co_ci_u32_e64 v24, null, s11, v24, vcc_lo
	global_load_dwordx2 v[23:24], v[23:24], off
	s_waitcnt vmcnt(0)
	v_div_scale_f64 v[26:27], null, v[18:19], v[18:19], v[23:24]
	v_rcp_f64_e32 v[28:29], v[26:27]
	v_fma_f64 v[30:31], -v[26:27], v[28:29], 1.0
	v_fma_f64 v[28:29], v[28:29], v[30:31], v[28:29]
	v_fma_f64 v[30:31], -v[26:27], v[28:29], 1.0
	v_fma_f64 v[28:29], v[28:29], v[30:31], v[28:29]
	v_div_scale_f64 v[30:31], vcc_lo, v[23:24], v[18:19], v[23:24]
	v_mul_f64 v[32:33], v[30:31], v[28:29]
	v_fma_f64 v[26:27], -v[26:27], v[32:33], v[30:31]
	v_div_fmas_f64 v[26:27], v[26:27], v[28:29], v[32:33]
	v_div_fixup_f64 v[18:19], v[26:27], v[18:19], v[23:24]
	v_mov_b32_e32 v24, 1
	v_add_f64 v[27:28], v[18:19], 0
.LBB4_15:
	s_or_b32 exec_lo, exec_lo, s0
.LBB4_16:
	s_or_b32 exec_lo, exec_lo, s7
.LBB4_17:
	s_or_b32 exec_lo, exec_lo, s6
	v_mov_b32_e32 v26, 0
	s_mov_b32 s0, exec_lo
	v_lshlrev_b64 v[18:19], 2, v[25:26]
	v_add_co_u32 v18, vcc_lo, s2, v18
	v_add_co_ci_u32_e64 v19, null, s3, v19, vcc_lo
	global_load_dword v23, v[18:19], off
	s_waitcnt vmcnt(0)
	v_cmpx_lt_i32_e32 0, v23
	s_xor_b32 s0, exec_lo, s0
	s_cbranch_execz .LBB4_21
; %bb.18:
	s_mov_b32 s6, exec_lo
	v_cmpx_eq_u32_e64 v46, v23
	s_cbranch_execz .LBB4_20
; %bb.19:
	v_lshlrev_b64 v[29:30], 3, v[25:26]
	v_add_nc_u32_e32 v24, 1, v24
	v_add_co_u32 v29, vcc_lo, s14, v29
	v_add_co_ci_u32_e64 v30, null, s15, v30, vcc_lo
	global_load_dwordx2 v[29:30], v[29:30], off
	s_waitcnt vmcnt(0)
	v_div_scale_f64 v[31:32], null, v[14:15], v[14:15], v[29:30]
	v_rcp_f64_e32 v[33:34], v[31:32]
	v_fma_f64 v[36:37], -v[31:32], v[33:34], 1.0
	v_fma_f64 v[33:34], v[33:34], v[36:37], v[33:34]
	v_fma_f64 v[36:37], -v[31:32], v[33:34], 1.0
	v_fma_f64 v[33:34], v[33:34], v[36:37], v[33:34]
	v_div_scale_f64 v[36:37], vcc_lo, v[29:30], v[14:15], v[29:30]
	v_mul_f64 v[38:39], v[36:37], v[33:34]
	v_fma_f64 v[31:32], -v[31:32], v[38:39], v[36:37]
	v_div_fmas_f64 v[31:32], v[31:32], v[33:34], v[38:39]
	v_div_fixup_f64 v[14:15], v[31:32], v[14:15], v[29:30]
	v_add_f64 v[27:28], v[27:28], v[14:15]
.LBB4_20:
	s_or_b32 exec_lo, exec_lo, s6
                                        ; implicit-def: $vgpr23
                                        ; implicit-def: $vgpr14_vgpr15
.LBB4_21:
	s_andn2_saveexec_b32 s6, s0
	s_cbranch_execz .LBB4_31
; %bb.22:
	v_sub_nc_u32_e32 v31, 1, v23
	v_sub_nc_u32_e32 v29, 0, v23
	v_mov_b32_e32 v30, 0
	s_mov_b32 s16, 0
	s_mov_b32 s7, exec_lo
	v_ashrrev_i32_e32 v32, 31, v31
	v_lshlrev_b64 v[29:30], 2, v[29:30]
	v_lshlrev_b64 v[31:32], 2, v[31:32]
	v_add_co_u32 v29, vcc_lo, s8, v29
	v_add_co_ci_u32_e64 v30, null, s9, v30, vcc_lo
	v_add_co_u32 v31, vcc_lo, s8, v31
	v_add_co_ci_u32_e64 v32, null, s9, v32, vcc_lo
	s_clause 0x1
	global_load_dword v29, v[29:30], off
	global_load_dword v23, v[31:32], off
	s_waitcnt vmcnt(0)
	v_cmpx_lt_i32_e64 v29, v23
	s_cbranch_execz .LBB4_30
; %bb.23:
	v_ashrrev_i32_e32 v30, 31, v29
                                        ; implicit-def: $sgpr17
                                        ; implicit-def: $sgpr19
                                        ; implicit-def: $sgpr18
	v_lshlrev_b64 v[31:32], 2, v[29:30]
	v_add_co_u32 v31, vcc_lo, s12, v31
	v_add_co_ci_u32_e64 v32, null, s13, v32, vcc_lo
	s_inst_prefetch 0x1
	s_branch .LBB4_25
	.p2align	6
.LBB4_24:                               ;   in Loop: Header=BB4_25 Depth=1
	s_or_b32 exec_lo, exec_lo, s20
	s_and_b32 s0, exec_lo, s19
	s_or_b32 s16, s0, s16
	s_andn2_b32 s0, s17, exec_lo
	s_and_b32 s17, s18, exec_lo
	s_or_b32 s17, s0, s17
	s_andn2_b32 exec_lo, exec_lo, s16
	s_cbranch_execz .LBB4_27
.LBB4_25:                               ; =>This Inner Loop Header: Depth=1
	global_load_dword v36, v[31:32], off
	v_mov_b32_e32 v34, v30
	v_mov_b32_e32 v33, v29
	s_or_b32 s18, s18, exec_lo
	s_or_b32 s19, s19, exec_lo
	s_mov_b32 s20, exec_lo
                                        ; implicit-def: $vgpr29_vgpr30
	s_waitcnt vmcnt(0)
	v_cmpx_ne_u32_e64 v36, v35
	s_cbranch_execz .LBB4_24
; %bb.26:                               ;   in Loop: Header=BB4_25 Depth=1
	v_add_co_u32 v29, vcc_lo, v33, 1
	v_add_co_ci_u32_e64 v30, null, 0, v34, vcc_lo
	v_add_co_u32 v31, s0, v31, 4
	v_cmp_ge_i32_e32 vcc_lo, v29, v23
	v_add_co_ci_u32_e64 v32, null, 0, v32, s0
	s_andn2_b32 s0, s19, exec_lo
	s_andn2_b32 s18, s18, exec_lo
	s_and_b32 s19, vcc_lo, exec_lo
	s_or_b32 s19, s0, s19
	s_branch .LBB4_24
.LBB4_27:
	s_inst_prefetch 0x2
	s_or_b32 exec_lo, exec_lo, s16
	s_and_saveexec_b32 s0, s17
	s_xor_b32 s0, exec_lo, s0
	s_cbranch_execz .LBB4_29
; %bb.28:
	v_lshlrev_b64 v[29:30], 3, v[33:34]
	v_add_nc_u32_e32 v24, 1, v24
	v_add_co_u32 v29, vcc_lo, s10, v29
	v_add_co_ci_u32_e64 v30, null, s11, v30, vcc_lo
	global_load_dwordx2 v[29:30], v[29:30], off
	s_waitcnt vmcnt(0)
	v_div_scale_f64 v[31:32], null, v[14:15], v[14:15], v[29:30]
	v_rcp_f64_e32 v[33:34], v[31:32]
	v_fma_f64 v[36:37], -v[31:32], v[33:34], 1.0
	v_fma_f64 v[33:34], v[33:34], v[36:37], v[33:34]
	v_fma_f64 v[36:37], -v[31:32], v[33:34], 1.0
	v_fma_f64 v[33:34], v[33:34], v[36:37], v[33:34]
	v_div_scale_f64 v[36:37], vcc_lo, v[29:30], v[14:15], v[29:30]
	v_mul_f64 v[38:39], v[36:37], v[33:34]
	v_fma_f64 v[31:32], -v[31:32], v[38:39], v[36:37]
	v_div_fmas_f64 v[31:32], v[31:32], v[33:34], v[38:39]
	v_div_fixup_f64 v[14:15], v[31:32], v[14:15], v[29:30]
	v_add_f64 v[27:28], v[27:28], v[14:15]
.LBB4_29:
	s_or_b32 exec_lo, exec_lo, s0
.LBB4_30:
	s_or_b32 exec_lo, exec_lo, s7
.LBB4_31:
	s_or_b32 exec_lo, exec_lo, s6
	global_load_dword v14, v[18:19], off offset:4
	s_mov_b32 s0, exec_lo
	s_waitcnt vmcnt(0)
	v_cmpx_lt_i32_e32 0, v14
	s_xor_b32 s0, exec_lo, s0
	s_cbranch_execz .LBB4_35
; %bb.32:
	s_mov_b32 s6, exec_lo
	v_cmpx_eq_u32_e64 v46, v14
	s_cbranch_execz .LBB4_34
; %bb.33:
	v_lshlrev_b64 v[14:15], 3, v[25:26]
	v_add_nc_u32_e32 v24, 1, v24
	v_add_co_u32 v14, vcc_lo, s14, v14
	v_add_co_ci_u32_e64 v15, null, s15, v15, vcc_lo
	global_load_dwordx2 v[14:15], v[14:15], off offset:8
	s_waitcnt vmcnt(0)
	v_div_scale_f64 v[18:19], null, v[12:13], v[12:13], v[14:15]
	v_rcp_f64_e32 v[25:26], v[18:19]
	v_fma_f64 v[29:30], -v[18:19], v[25:26], 1.0
	v_fma_f64 v[25:26], v[25:26], v[29:30], v[25:26]
	v_fma_f64 v[29:30], -v[18:19], v[25:26], 1.0
	v_fma_f64 v[25:26], v[25:26], v[29:30], v[25:26]
	v_div_scale_f64 v[29:30], vcc_lo, v[14:15], v[12:13], v[14:15]
	v_mul_f64 v[31:32], v[29:30], v[25:26]
	v_fma_f64 v[18:19], -v[18:19], v[31:32], v[29:30]
	v_div_fmas_f64 v[18:19], v[18:19], v[25:26], v[31:32]
	v_div_fixup_f64 v[12:13], v[18:19], v[12:13], v[14:15]
	v_add_f64 v[27:28], v[27:28], v[12:13]
.LBB4_34:
	s_or_b32 exec_lo, exec_lo, s6
                                        ; implicit-def: $vgpr14
                                        ; implicit-def: $vgpr12_vgpr13
.LBB4_35:
	s_andn2_saveexec_b32 s6, s0
	s_cbranch_execz .LBB4_45
; %bb.36:
	v_sub_nc_u32_e32 v18, 0, v14
	v_sub_nc_u32_e32 v14, 1, v14
	v_mov_b32_e32 v19, 0
	s_mov_b32 s16, 0
	s_mov_b32 s7, exec_lo
	v_ashrrev_i32_e32 v15, 31, v14
	v_lshlrev_b64 v[18:19], 2, v[18:19]
	v_lshlrev_b64 v[14:15], 2, v[14:15]
	v_add_co_u32 v18, vcc_lo, s8, v18
	v_add_co_ci_u32_e64 v19, null, s9, v19, vcc_lo
	v_add_co_u32 v25, vcc_lo, s8, v14
	v_add_co_ci_u32_e64 v26, null, s9, v15, vcc_lo
	s_clause 0x1
	global_load_dword v14, v[18:19], off
	global_load_dword v23, v[25:26], off
	s_waitcnt vmcnt(0)
	v_cmpx_lt_i32_e64 v14, v23
	s_cbranch_execz .LBB4_44
; %bb.37:
	v_ashrrev_i32_e32 v15, 31, v14
                                        ; implicit-def: $sgpr17
                                        ; implicit-def: $sgpr19
                                        ; implicit-def: $sgpr18
	v_lshlrev_b64 v[18:19], 2, v[14:15]
	v_add_co_u32 v18, vcc_lo, s12, v18
	v_add_co_ci_u32_e64 v19, null, s13, v19, vcc_lo
	s_inst_prefetch 0x1
	s_branch .LBB4_39
	.p2align	6
.LBB4_38:                               ;   in Loop: Header=BB4_39 Depth=1
	s_or_b32 exec_lo, exec_lo, s20
	s_and_b32 s0, exec_lo, s19
	s_or_b32 s16, s0, s16
	s_andn2_b32 s0, s17, exec_lo
	s_and_b32 s17, s18, exec_lo
	s_or_b32 s17, s0, s17
	s_andn2_b32 exec_lo, exec_lo, s16
	s_cbranch_execz .LBB4_41
.LBB4_39:                               ; =>This Inner Loop Header: Depth=1
	global_load_dword v29, v[18:19], off
	v_mov_b32_e32 v26, v15
	v_mov_b32_e32 v25, v14
	s_or_b32 s18, s18, exec_lo
	s_or_b32 s19, s19, exec_lo
	s_mov_b32 s20, exec_lo
                                        ; implicit-def: $vgpr14_vgpr15
	s_waitcnt vmcnt(0)
	v_cmpx_ne_u32_e64 v29, v35
	s_cbranch_execz .LBB4_38
; %bb.40:                               ;   in Loop: Header=BB4_39 Depth=1
	v_add_co_u32 v14, vcc_lo, v25, 1
	v_add_co_ci_u32_e64 v15, null, 0, v26, vcc_lo
	v_add_co_u32 v18, s0, v18, 4
	v_cmp_ge_i32_e32 vcc_lo, v14, v23
	v_add_co_ci_u32_e64 v19, null, 0, v19, s0
	s_andn2_b32 s0, s19, exec_lo
	s_andn2_b32 s18, s18, exec_lo
	s_and_b32 s19, vcc_lo, exec_lo
	s_or_b32 s19, s0, s19
	s_branch .LBB4_38
.LBB4_41:
	s_inst_prefetch 0x2
	s_or_b32 exec_lo, exec_lo, s16
	s_and_saveexec_b32 s0, s17
	s_xor_b32 s0, exec_lo, s0
	s_cbranch_execz .LBB4_43
; %bb.42:
	v_lshlrev_b64 v[14:15], 3, v[25:26]
	v_add_nc_u32_e32 v24, 1, v24
	v_add_co_u32 v14, vcc_lo, s10, v14
	v_add_co_ci_u32_e64 v15, null, s11, v15, vcc_lo
	global_load_dwordx2 v[14:15], v[14:15], off
	s_waitcnt vmcnt(0)
	v_div_scale_f64 v[18:19], null, v[12:13], v[12:13], v[14:15]
	v_rcp_f64_e32 v[25:26], v[18:19]
	v_fma_f64 v[29:30], -v[18:19], v[25:26], 1.0
	v_fma_f64 v[25:26], v[25:26], v[29:30], v[25:26]
	v_fma_f64 v[29:30], -v[18:19], v[25:26], 1.0
	v_fma_f64 v[25:26], v[25:26], v[29:30], v[25:26]
	v_div_scale_f64 v[29:30], vcc_lo, v[14:15], v[12:13], v[14:15]
	v_mul_f64 v[31:32], v[29:30], v[25:26]
	v_fma_f64 v[18:19], -v[18:19], v[31:32], v[29:30]
	v_div_fmas_f64 v[18:19], v[18:19], v[25:26], v[31:32]
	v_div_fixup_f64 v[12:13], v[18:19], v[12:13], v[14:15]
	v_add_f64 v[27:28], v[27:28], v[12:13]
.LBB4_43:
	s_or_b32 exec_lo, exec_lo, s0
.LBB4_44:
	s_or_b32 exec_lo, exec_lo, s7
.LBB4_45:
	s_or_b32 exec_lo, exec_lo, s6
	v_add_nc_u32_e32 v12, v21, v48
	v_mov_b32_e32 v13, 0
	s_mov_b32 s0, exec_lo
	v_lshlrev_b64 v[14:15], 2, v[12:13]
	v_add_co_u32 v14, vcc_lo, s2, v14
	v_add_co_ci_u32_e64 v15, null, s3, v15, vcc_lo
	global_load_dword v14, v[14:15], off
	s_waitcnt vmcnt(0)
	v_cmpx_lt_i32_e32 0, v14
	s_xor_b32 s0, exec_lo, s0
	s_cbranch_execz .LBB4_49
; %bb.46:
	s_mov_b32 s6, exec_lo
	v_cmpx_eq_u32_e64 v46, v14
	s_cbranch_execz .LBB4_48
; %bb.47:
	v_lshlrev_b64 v[12:13], 3, v[12:13]
	v_add_nc_u32_e32 v24, 1, v24
	v_add_co_u32 v12, vcc_lo, s14, v12
	v_add_co_ci_u32_e64 v13, null, s15, v13, vcc_lo
	global_load_dwordx2 v[12:13], v[12:13], off
	s_waitcnt vmcnt(0)
	v_div_scale_f64 v[14:15], null, v[10:11], v[10:11], v[12:13]
	v_rcp_f64_e32 v[18:19], v[14:15]
	v_fma_f64 v[25:26], -v[14:15], v[18:19], 1.0
	v_fma_f64 v[18:19], v[18:19], v[25:26], v[18:19]
	v_fma_f64 v[25:26], -v[14:15], v[18:19], 1.0
	v_fma_f64 v[18:19], v[18:19], v[25:26], v[18:19]
	v_div_scale_f64 v[25:26], vcc_lo, v[12:13], v[10:11], v[12:13]
	v_mul_f64 v[29:30], v[25:26], v[18:19]
	v_fma_f64 v[14:15], -v[14:15], v[29:30], v[25:26]
	v_div_fmas_f64 v[14:15], v[14:15], v[18:19], v[29:30]
	v_div_fixup_f64 v[10:11], v[14:15], v[10:11], v[12:13]
	v_add_f64 v[27:28], v[27:28], v[10:11]
.LBB4_48:
	s_or_b32 exec_lo, exec_lo, s6
                                        ; implicit-def: $vgpr14
                                        ; implicit-def: $vgpr10_vgpr11
.LBB4_49:
	s_andn2_saveexec_b32 s6, s0
	s_cbranch_execz .LBB4_59
; %bb.50:
	v_sub_nc_u32_e32 v12, 0, v14
	v_sub_nc_u32_e32 v14, 1, v14
	v_mov_b32_e32 v13, 0
	s_mov_b32 s16, 0
	s_mov_b32 s7, exec_lo
	v_ashrrev_i32_e32 v15, 31, v14
	v_lshlrev_b64 v[12:13], 2, v[12:13]
	v_lshlrev_b64 v[14:15], 2, v[14:15]
	v_add_co_u32 v12, vcc_lo, s8, v12
	v_add_co_ci_u32_e64 v13, null, s9, v13, vcc_lo
	v_add_co_u32 v14, vcc_lo, s8, v14
	v_add_co_ci_u32_e64 v15, null, s9, v15, vcc_lo
	s_clause 0x1
	global_load_dword v12, v[12:13], off
	global_load_dword v23, v[14:15], off
	s_waitcnt vmcnt(0)
	v_cmpx_lt_i32_e64 v12, v23
	s_cbranch_execz .LBB4_58
; %bb.51:
	v_ashrrev_i32_e32 v13, 31, v12
                                        ; implicit-def: $sgpr17
                                        ; implicit-def: $sgpr19
                                        ; implicit-def: $sgpr18
	v_lshlrev_b64 v[14:15], 2, v[12:13]
	v_add_co_u32 v14, vcc_lo, s12, v14
	v_add_co_ci_u32_e64 v15, null, s13, v15, vcc_lo
	s_inst_prefetch 0x1
	s_branch .LBB4_53
	.p2align	6
.LBB4_52:                               ;   in Loop: Header=BB4_53 Depth=1
	s_or_b32 exec_lo, exec_lo, s20
	s_and_b32 s0, exec_lo, s19
	s_or_b32 s16, s0, s16
	s_andn2_b32 s0, s17, exec_lo
	s_and_b32 s17, s18, exec_lo
	s_or_b32 s17, s0, s17
	s_andn2_b32 exec_lo, exec_lo, s16
	s_cbranch_execz .LBB4_55
.LBB4_53:                               ; =>This Inner Loop Header: Depth=1
	global_load_dword v25, v[14:15], off
	v_mov_b32_e32 v19, v13
	v_mov_b32_e32 v18, v12
	s_or_b32 s18, s18, exec_lo
	s_or_b32 s19, s19, exec_lo
	s_mov_b32 s20, exec_lo
                                        ; implicit-def: $vgpr12_vgpr13
	s_waitcnt vmcnt(0)
	v_cmpx_ne_u32_e64 v25, v35
	s_cbranch_execz .LBB4_52
; %bb.54:                               ;   in Loop: Header=BB4_53 Depth=1
	v_add_co_u32 v12, vcc_lo, v18, 1
	v_add_co_ci_u32_e64 v13, null, 0, v19, vcc_lo
	v_add_co_u32 v14, s0, v14, 4
	v_cmp_ge_i32_e32 vcc_lo, v12, v23
	v_add_co_ci_u32_e64 v15, null, 0, v15, s0
	s_andn2_b32 s0, s19, exec_lo
	s_andn2_b32 s18, s18, exec_lo
	s_and_b32 s19, vcc_lo, exec_lo
	s_or_b32 s19, s0, s19
	s_branch .LBB4_52
.LBB4_55:
	s_inst_prefetch 0x2
	s_or_b32 exec_lo, exec_lo, s16
	s_and_saveexec_b32 s0, s17
	s_xor_b32 s0, exec_lo, s0
	s_cbranch_execz .LBB4_57
; %bb.56:
	v_lshlrev_b64 v[12:13], 3, v[18:19]
	v_add_nc_u32_e32 v24, 1, v24
	v_add_co_u32 v12, vcc_lo, s10, v12
	v_add_co_ci_u32_e64 v13, null, s11, v13, vcc_lo
	global_load_dwordx2 v[12:13], v[12:13], off
	s_waitcnt vmcnt(0)
	v_div_scale_f64 v[14:15], null, v[10:11], v[10:11], v[12:13]
	v_rcp_f64_e32 v[18:19], v[14:15]
	v_fma_f64 v[25:26], -v[14:15], v[18:19], 1.0
	v_fma_f64 v[18:19], v[18:19], v[25:26], v[18:19]
	v_fma_f64 v[25:26], -v[14:15], v[18:19], 1.0
	v_fma_f64 v[18:19], v[18:19], v[25:26], v[18:19]
	v_div_scale_f64 v[25:26], vcc_lo, v[12:13], v[10:11], v[12:13]
	v_mul_f64 v[29:30], v[25:26], v[18:19]
	v_fma_f64 v[14:15], -v[14:15], v[29:30], v[25:26]
	v_div_fmas_f64 v[14:15], v[14:15], v[18:19], v[29:30]
	v_div_fixup_f64 v[10:11], v[14:15], v[10:11], v[12:13]
	v_add_f64 v[27:28], v[27:28], v[10:11]
.LBB4_57:
	s_or_b32 exec_lo, exec_lo, s0
.LBB4_58:
	s_or_b32 exec_lo, exec_lo, s7
.LBB4_59:
	s_or_b32 exec_lo, exec_lo, s6
	v_mov_b32_e32 v23, 0
	s_mov_b32 s0, exec_lo
	v_lshlrev_b64 v[10:11], 3, v[22:23]
	v_lshlrev_b64 v[18:19], 2, v[22:23]
	v_add_co_u32 v10, vcc_lo, s14, v10
	v_add_co_ci_u32_e64 v11, null, s15, v11, vcc_lo
	v_add_co_u32 v18, vcc_lo, s2, v18
	v_add_co_ci_u32_e64 v19, null, s3, v19, vcc_lo
	global_load_dwordx2 v[13:14], v[10:11], off
	global_load_dword v12, v[18:19], off offset:4
	s_waitcnt vmcnt(1)
	v_div_scale_f64 v[18:19], null, v[8:9], v[8:9], v[13:14]
	v_rcp_f64_e32 v[22:23], v[18:19]
	v_fma_f64 v[25:26], -v[18:19], v[22:23], 1.0
	v_fma_f64 v[22:23], v[22:23], v[25:26], v[22:23]
	v_fma_f64 v[25:26], -v[18:19], v[22:23], 1.0
	v_fma_f64 v[22:23], v[22:23], v[25:26], v[22:23]
	v_div_scale_f64 v[25:26], vcc_lo, v[13:14], v[8:9], v[13:14]
	v_mul_f64 v[29:30], v[25:26], v[22:23]
	v_fma_f64 v[18:19], -v[18:19], v[29:30], v[25:26]
	v_div_fmas_f64 v[18:19], v[18:19], v[22:23], v[29:30]
	v_div_fixup_f64 v[8:9], v[18:19], v[8:9], v[13:14]
	v_add_nc_u32_e32 v18, 1, v24
	v_add_f64 v[8:9], v[27:28], v[8:9]
	s_waitcnt vmcnt(0)
	v_cmpx_lt_i32_e32 0, v12
	s_xor_b32 s0, exec_lo, s0
	s_cbranch_execz .LBB4_63
; %bb.60:
	s_mov_b32 s6, exec_lo
	v_cmpx_eq_u32_e64 v46, v12
	s_cbranch_execz .LBB4_62
; %bb.61:
	global_load_dwordx2 v[10:11], v[10:11], off offset:8
	s_waitcnt vmcnt(0)
	v_div_scale_f64 v[12:13], null, v[6:7], v[6:7], v[10:11]
	v_rcp_f64_e32 v[14:15], v[12:13]
	v_fma_f64 v[18:19], -v[12:13], v[14:15], 1.0
	v_fma_f64 v[14:15], v[14:15], v[18:19], v[14:15]
	v_fma_f64 v[18:19], -v[12:13], v[14:15], 1.0
	v_fma_f64 v[14:15], v[14:15], v[18:19], v[14:15]
	v_div_scale_f64 v[18:19], vcc_lo, v[10:11], v[6:7], v[10:11]
	v_mul_f64 v[22:23], v[18:19], v[14:15]
	v_fma_f64 v[12:13], -v[12:13], v[22:23], v[18:19]
	v_add_nc_u32_e32 v18, 2, v24
	v_div_fmas_f64 v[12:13], v[12:13], v[14:15], v[22:23]
	v_div_fixup_f64 v[6:7], v[12:13], v[6:7], v[10:11]
	v_add_f64 v[8:9], v[8:9], v[6:7]
.LBB4_62:
	s_or_b32 exec_lo, exec_lo, s6
                                        ; implicit-def: $vgpr12
                                        ; implicit-def: $vgpr6_vgpr7
                                        ; implicit-def: $vgpr24
.LBB4_63:
	s_andn2_saveexec_b32 s6, s0
	s_cbranch_execz .LBB4_73
; %bb.64:
	v_sub_nc_u32_e32 v10, 0, v12
	v_sub_nc_u32_e32 v12, 1, v12
	v_mov_b32_e32 v11, 0
	s_mov_b32 s16, 0
	s_mov_b32 s7, exec_lo
	v_ashrrev_i32_e32 v13, 31, v12
	v_lshlrev_b64 v[10:11], 2, v[10:11]
	v_lshlrev_b64 v[12:13], 2, v[12:13]
	v_add_co_u32 v10, vcc_lo, s8, v10
	v_add_co_ci_u32_e64 v11, null, s9, v11, vcc_lo
	v_add_co_u32 v12, vcc_lo, s8, v12
	v_add_co_ci_u32_e64 v13, null, s9, v13, vcc_lo
	s_clause 0x1
	global_load_dword v10, v[10:11], off
	global_load_dword v19, v[12:13], off
	s_waitcnt vmcnt(0)
	v_cmpx_lt_i32_e64 v10, v19
	s_cbranch_execz .LBB4_72
; %bb.65:
	v_ashrrev_i32_e32 v11, 31, v10
                                        ; implicit-def: $sgpr17
                                        ; implicit-def: $sgpr19
                                        ; implicit-def: $sgpr18
	v_lshlrev_b64 v[12:13], 2, v[10:11]
	v_add_co_u32 v12, vcc_lo, s12, v12
	v_add_co_ci_u32_e64 v13, null, s13, v13, vcc_lo
	s_inst_prefetch 0x1
	s_branch .LBB4_67
	.p2align	6
.LBB4_66:                               ;   in Loop: Header=BB4_67 Depth=1
	s_or_b32 exec_lo, exec_lo, s20
	s_and_b32 s0, exec_lo, s19
	s_or_b32 s16, s0, s16
	s_andn2_b32 s0, s17, exec_lo
	s_and_b32 s17, s18, exec_lo
	s_or_b32 s17, s0, s17
	s_andn2_b32 exec_lo, exec_lo, s16
	s_cbranch_execz .LBB4_69
.LBB4_67:                               ; =>This Inner Loop Header: Depth=1
	global_load_dword v22, v[12:13], off
	v_mov_b32_e32 v15, v11
	v_mov_b32_e32 v14, v10
	s_or_b32 s18, s18, exec_lo
	s_or_b32 s19, s19, exec_lo
	s_mov_b32 s20, exec_lo
                                        ; implicit-def: $vgpr10_vgpr11
	s_waitcnt vmcnt(0)
	v_cmpx_ne_u32_e64 v22, v35
	s_cbranch_execz .LBB4_66
; %bb.68:                               ;   in Loop: Header=BB4_67 Depth=1
	v_add_co_u32 v10, vcc_lo, v14, 1
	v_add_co_ci_u32_e64 v11, null, 0, v15, vcc_lo
	v_add_co_u32 v12, s0, v12, 4
	v_cmp_ge_i32_e32 vcc_lo, v10, v19
	v_add_co_ci_u32_e64 v13, null, 0, v13, s0
	s_andn2_b32 s0, s19, exec_lo
	s_andn2_b32 s18, s18, exec_lo
	s_and_b32 s19, vcc_lo, exec_lo
	s_or_b32 s19, s0, s19
	s_branch .LBB4_66
.LBB4_69:
	s_inst_prefetch 0x2
	s_or_b32 exec_lo, exec_lo, s16
	s_and_saveexec_b32 s0, s17
	s_xor_b32 s0, exec_lo, s0
	s_cbranch_execz .LBB4_71
; %bb.70:
	v_lshlrev_b64 v[10:11], 3, v[14:15]
	v_add_co_u32 v10, vcc_lo, s10, v10
	v_add_co_ci_u32_e64 v11, null, s11, v11, vcc_lo
	global_load_dwordx2 v[10:11], v[10:11], off
	s_waitcnt vmcnt(0)
	v_div_scale_f64 v[12:13], null, v[6:7], v[6:7], v[10:11]
	v_rcp_f64_e32 v[14:15], v[12:13]
	v_fma_f64 v[18:19], -v[12:13], v[14:15], 1.0
	v_fma_f64 v[14:15], v[14:15], v[18:19], v[14:15]
	v_fma_f64 v[18:19], -v[12:13], v[14:15], 1.0
	v_fma_f64 v[14:15], v[14:15], v[18:19], v[14:15]
	v_div_scale_f64 v[18:19], vcc_lo, v[10:11], v[6:7], v[10:11]
	v_mul_f64 v[22:23], v[18:19], v[14:15]
	v_fma_f64 v[12:13], -v[12:13], v[22:23], v[18:19]
	v_add_nc_u32_e32 v18, 2, v24
	v_div_fmas_f64 v[12:13], v[12:13], v[14:15], v[22:23]
	v_div_fixup_f64 v[6:7], v[12:13], v[6:7], v[10:11]
	v_add_f64 v[8:9], v[8:9], v[6:7]
.LBB4_71:
	s_or_b32 exec_lo, exec_lo, s0
.LBB4_72:
	s_or_b32 exec_lo, exec_lo, s7
.LBB4_73:
	s_or_b32 exec_lo, exec_lo, s6
	v_add_nc_u32_e32 v6, v21, v47
	v_mov_b32_e32 v7, 0
	s_mov_b32 s0, exec_lo
	v_lshlrev_b64 v[10:11], 2, v[6:7]
	v_add_co_u32 v10, vcc_lo, s2, v10
	v_add_co_ci_u32_e64 v11, null, s3, v11, vcc_lo
	global_load_dword v10, v[10:11], off
	s_waitcnt vmcnt(0)
	v_cmpx_lt_i32_e32 0, v10
	s_xor_b32 s0, exec_lo, s0
	s_cbranch_execz .LBB4_77
; %bb.74:
	s_mov_b32 s6, exec_lo
	v_cmpx_eq_u32_e64 v46, v10
	s_cbranch_execz .LBB4_76
; %bb.75:
	v_lshlrev_b64 v[6:7], 3, v[6:7]
	v_add_nc_u32_e32 v18, 1, v18
	v_add_co_u32 v6, vcc_lo, s14, v6
	v_add_co_ci_u32_e64 v7, null, s15, v7, vcc_lo
	global_load_dwordx2 v[6:7], v[6:7], off
	s_waitcnt vmcnt(0)
	v_div_scale_f64 v[10:11], null, v[4:5], v[4:5], v[6:7]
	v_rcp_f64_e32 v[12:13], v[10:11]
	v_fma_f64 v[14:15], -v[10:11], v[12:13], 1.0
	v_fma_f64 v[12:13], v[12:13], v[14:15], v[12:13]
	v_fma_f64 v[14:15], -v[10:11], v[12:13], 1.0
	v_fma_f64 v[12:13], v[12:13], v[14:15], v[12:13]
	v_div_scale_f64 v[14:15], vcc_lo, v[6:7], v[4:5], v[6:7]
	v_mul_f64 v[21:22], v[14:15], v[12:13]
	v_fma_f64 v[10:11], -v[10:11], v[21:22], v[14:15]
	v_div_fmas_f64 v[10:11], v[10:11], v[12:13], v[21:22]
	v_div_fixup_f64 v[4:5], v[10:11], v[4:5], v[6:7]
	v_add_f64 v[8:9], v[8:9], v[4:5]
.LBB4_76:
	s_or_b32 exec_lo, exec_lo, s6
                                        ; implicit-def: $vgpr10
                                        ; implicit-def: $vgpr4_vgpr5
.LBB4_77:
	s_andn2_saveexec_b32 s6, s0
	s_cbranch_execz .LBB4_87
; %bb.78:
	v_sub_nc_u32_e32 v6, 0, v10
	v_sub_nc_u32_e32 v10, 1, v10
	v_mov_b32_e32 v7, 0
	s_mov_b32 s16, 0
	s_mov_b32 s7, exec_lo
	v_ashrrev_i32_e32 v11, 31, v10
	v_lshlrev_b64 v[6:7], 2, v[6:7]
	v_lshlrev_b64 v[10:11], 2, v[10:11]
	v_add_co_u32 v6, vcc_lo, s8, v6
	v_add_co_ci_u32_e64 v7, null, s9, v7, vcc_lo
	v_add_co_u32 v10, vcc_lo, s8, v10
	v_add_co_ci_u32_e64 v11, null, s9, v11, vcc_lo
	s_clause 0x1
	global_load_dword v6, v[6:7], off
	global_load_dword v14, v[10:11], off
	s_waitcnt vmcnt(0)
	v_cmpx_lt_i32_e64 v6, v14
	s_cbranch_execz .LBB4_86
; %bb.79:
	v_ashrrev_i32_e32 v7, 31, v6
                                        ; implicit-def: $sgpr17
                                        ; implicit-def: $sgpr19
                                        ; implicit-def: $sgpr18
	v_lshlrev_b64 v[10:11], 2, v[6:7]
	v_add_co_u32 v10, vcc_lo, s12, v10
	v_add_co_ci_u32_e64 v11, null, s13, v11, vcc_lo
	s_inst_prefetch 0x1
	s_branch .LBB4_81
	.p2align	6
.LBB4_80:                               ;   in Loop: Header=BB4_81 Depth=1
	s_or_b32 exec_lo, exec_lo, s20
	s_and_b32 s0, exec_lo, s19
	s_or_b32 s16, s0, s16
	s_andn2_b32 s0, s17, exec_lo
	s_and_b32 s17, s18, exec_lo
	s_or_b32 s17, s0, s17
	s_andn2_b32 exec_lo, exec_lo, s16
	s_cbranch_execz .LBB4_83
.LBB4_81:                               ; =>This Inner Loop Header: Depth=1
	global_load_dword v15, v[10:11], off
	v_mov_b32_e32 v13, v7
	v_mov_b32_e32 v12, v6
	s_or_b32 s18, s18, exec_lo
	s_or_b32 s19, s19, exec_lo
	s_mov_b32 s20, exec_lo
                                        ; implicit-def: $vgpr6_vgpr7
	s_waitcnt vmcnt(0)
	v_cmpx_ne_u32_e64 v15, v35
	s_cbranch_execz .LBB4_80
; %bb.82:                               ;   in Loop: Header=BB4_81 Depth=1
	v_add_co_u32 v6, vcc_lo, v12, 1
	v_add_co_ci_u32_e64 v7, null, 0, v13, vcc_lo
	v_add_co_u32 v10, s0, v10, 4
	v_cmp_ge_i32_e32 vcc_lo, v6, v14
	v_add_co_ci_u32_e64 v11, null, 0, v11, s0
	s_andn2_b32 s0, s19, exec_lo
	s_andn2_b32 s18, s18, exec_lo
	s_and_b32 s19, vcc_lo, exec_lo
	s_or_b32 s19, s0, s19
	s_branch .LBB4_80
.LBB4_83:
	s_inst_prefetch 0x2
	s_or_b32 exec_lo, exec_lo, s16
	s_and_saveexec_b32 s0, s17
	s_xor_b32 s0, exec_lo, s0
	s_cbranch_execz .LBB4_85
; %bb.84:
	v_lshlrev_b64 v[6:7], 3, v[12:13]
	v_add_nc_u32_e32 v18, 1, v18
	v_add_co_u32 v6, vcc_lo, s10, v6
	v_add_co_ci_u32_e64 v7, null, s11, v7, vcc_lo
	global_load_dwordx2 v[6:7], v[6:7], off
	s_waitcnt vmcnt(0)
	v_div_scale_f64 v[10:11], null, v[4:5], v[4:5], v[6:7]
	v_rcp_f64_e32 v[12:13], v[10:11]
	v_fma_f64 v[14:15], -v[10:11], v[12:13], 1.0
	v_fma_f64 v[12:13], v[12:13], v[14:15], v[12:13]
	v_fma_f64 v[14:15], -v[10:11], v[12:13], 1.0
	v_fma_f64 v[12:13], v[12:13], v[14:15], v[12:13]
	v_div_scale_f64 v[14:15], vcc_lo, v[6:7], v[4:5], v[6:7]
	v_mul_f64 v[21:22], v[14:15], v[12:13]
	v_fma_f64 v[10:11], -v[10:11], v[21:22], v[14:15]
	v_div_fmas_f64 v[10:11], v[10:11], v[12:13], v[21:22]
	v_div_fixup_f64 v[4:5], v[10:11], v[4:5], v[6:7]
	v_add_f64 v[8:9], v[8:9], v[4:5]
.LBB4_85:
	s_or_b32 exec_lo, exec_lo, s0
.LBB4_86:
	s_or_b32 exec_lo, exec_lo, s7
.LBB4_87:
	s_or_b32 exec_lo, exec_lo, s6
	v_mov_b32_e32 v21, 0
	s_mov_b32 s0, exec_lo
	v_lshlrev_b64 v[4:5], 2, v[20:21]
	v_add_co_u32 v4, vcc_lo, s2, v4
	v_add_co_ci_u32_e64 v5, null, s3, v5, vcc_lo
	global_load_dword v6, v[4:5], off
	s_waitcnt vmcnt(0)
	v_cmpx_lt_i32_e32 0, v6
	s_xor_b32 s0, exec_lo, s0
	s_cbranch_execz .LBB4_91
; %bb.88:
	s_mov_b32 s6, exec_lo
	v_cmpx_eq_u32_e64 v46, v6
	s_cbranch_execz .LBB4_90
; %bb.89:
	v_lshlrev_b64 v[6:7], 3, v[20:21]
	v_add_nc_u32_e32 v18, 1, v18
	v_add_co_u32 v6, vcc_lo, s14, v6
	v_add_co_ci_u32_e64 v7, null, s15, v7, vcc_lo
	global_load_dwordx2 v[6:7], v[6:7], off
	s_waitcnt vmcnt(0)
	v_div_scale_f64 v[10:11], null, v[2:3], v[2:3], v[6:7]
	v_rcp_f64_e32 v[12:13], v[10:11]
	v_fma_f64 v[14:15], -v[10:11], v[12:13], 1.0
	v_fma_f64 v[12:13], v[12:13], v[14:15], v[12:13]
	v_fma_f64 v[14:15], -v[10:11], v[12:13], 1.0
	v_fma_f64 v[12:13], v[12:13], v[14:15], v[12:13]
	v_div_scale_f64 v[14:15], vcc_lo, v[6:7], v[2:3], v[6:7]
	v_mul_f64 v[22:23], v[14:15], v[12:13]
	v_fma_f64 v[10:11], -v[10:11], v[22:23], v[14:15]
	v_div_fmas_f64 v[10:11], v[10:11], v[12:13], v[22:23]
	v_div_fixup_f64 v[2:3], v[10:11], v[2:3], v[6:7]
	v_add_f64 v[8:9], v[8:9], v[2:3]
.LBB4_90:
	s_or_b32 exec_lo, exec_lo, s6
                                        ; implicit-def: $vgpr6
                                        ; implicit-def: $vgpr2_vgpr3
.LBB4_91:
	s_andn2_saveexec_b32 s6, s0
	s_cbranch_execz .LBB4_101
; %bb.92:
	v_sub_nc_u32_e32 v10, 0, v6
	v_sub_nc_u32_e32 v6, 1, v6
	v_mov_b32_e32 v11, 0
	s_mov_b32 s16, 0
	s_mov_b32 s7, exec_lo
	v_ashrrev_i32_e32 v7, 31, v6
	v_lshlrev_b64 v[10:11], 2, v[10:11]
	v_lshlrev_b64 v[6:7], 2, v[6:7]
	v_add_co_u32 v10, vcc_lo, s8, v10
	v_add_co_ci_u32_e64 v11, null, s9, v11, vcc_lo
	v_add_co_u32 v12, vcc_lo, s8, v6
	v_add_co_ci_u32_e64 v13, null, s9, v7, vcc_lo
	s_clause 0x1
	global_load_dword v6, v[10:11], off
	global_load_dword v14, v[12:13], off
	s_waitcnt vmcnt(0)
	v_cmpx_lt_i32_e64 v6, v14
	s_cbranch_execz .LBB4_100
; %bb.93:
	v_ashrrev_i32_e32 v7, 31, v6
                                        ; implicit-def: $sgpr17
                                        ; implicit-def: $sgpr19
                                        ; implicit-def: $sgpr18
	v_lshlrev_b64 v[10:11], 2, v[6:7]
	v_add_co_u32 v10, vcc_lo, s12, v10
	v_add_co_ci_u32_e64 v11, null, s13, v11, vcc_lo
	s_inst_prefetch 0x1
	s_branch .LBB4_95
	.p2align	6
.LBB4_94:                               ;   in Loop: Header=BB4_95 Depth=1
	s_or_b32 exec_lo, exec_lo, s20
	s_and_b32 s0, exec_lo, s19
	s_or_b32 s16, s0, s16
	s_andn2_b32 s0, s17, exec_lo
	s_and_b32 s17, s18, exec_lo
	s_or_b32 s17, s0, s17
	s_andn2_b32 exec_lo, exec_lo, s16
	s_cbranch_execz .LBB4_97
.LBB4_95:                               ; =>This Inner Loop Header: Depth=1
	global_load_dword v15, v[10:11], off
	v_mov_b32_e32 v13, v7
	v_mov_b32_e32 v12, v6
	s_or_b32 s18, s18, exec_lo
	s_or_b32 s19, s19, exec_lo
	s_mov_b32 s20, exec_lo
                                        ; implicit-def: $vgpr6_vgpr7
	s_waitcnt vmcnt(0)
	v_cmpx_ne_u32_e64 v15, v35
	s_cbranch_execz .LBB4_94
; %bb.96:                               ;   in Loop: Header=BB4_95 Depth=1
	v_add_co_u32 v6, vcc_lo, v12, 1
	v_add_co_ci_u32_e64 v7, null, 0, v13, vcc_lo
	v_add_co_u32 v10, s0, v10, 4
	v_cmp_ge_i32_e32 vcc_lo, v6, v14
	v_add_co_ci_u32_e64 v11, null, 0, v11, s0
	s_andn2_b32 s0, s19, exec_lo
	s_andn2_b32 s18, s18, exec_lo
	s_and_b32 s19, vcc_lo, exec_lo
	s_or_b32 s19, s0, s19
	s_branch .LBB4_94
.LBB4_97:
	s_inst_prefetch 0x2
	s_or_b32 exec_lo, exec_lo, s16
	s_and_saveexec_b32 s0, s17
	s_xor_b32 s0, exec_lo, s0
	s_cbranch_execz .LBB4_99
; %bb.98:
	v_lshlrev_b64 v[6:7], 3, v[12:13]
	v_add_nc_u32_e32 v18, 1, v18
	v_add_co_u32 v6, vcc_lo, s10, v6
	v_add_co_ci_u32_e64 v7, null, s11, v7, vcc_lo
	global_load_dwordx2 v[6:7], v[6:7], off
	s_waitcnt vmcnt(0)
	v_div_scale_f64 v[10:11], null, v[2:3], v[2:3], v[6:7]
	v_rcp_f64_e32 v[12:13], v[10:11]
	v_fma_f64 v[14:15], -v[10:11], v[12:13], 1.0
	v_fma_f64 v[12:13], v[12:13], v[14:15], v[12:13]
	v_fma_f64 v[14:15], -v[10:11], v[12:13], 1.0
	v_fma_f64 v[12:13], v[12:13], v[14:15], v[12:13]
	v_div_scale_f64 v[14:15], vcc_lo, v[6:7], v[2:3], v[6:7]
	v_mul_f64 v[22:23], v[14:15], v[12:13]
	v_fma_f64 v[10:11], -v[10:11], v[22:23], v[14:15]
	v_div_fmas_f64 v[10:11], v[10:11], v[12:13], v[22:23]
	v_div_fixup_f64 v[2:3], v[10:11], v[2:3], v[6:7]
	v_add_f64 v[8:9], v[8:9], v[2:3]
.LBB4_99:
	s_or_b32 exec_lo, exec_lo, s0
.LBB4_100:
	s_or_b32 exec_lo, exec_lo, s7
.LBB4_101:
	s_or_b32 exec_lo, exec_lo, s6
	global_load_dword v2, v[4:5], off offset:4
	s_load_dwordx2 s[6:7], s[4:5], 0x28
	s_mov_b32 s0, exec_lo
	s_waitcnt vmcnt(0)
	v_cmpx_lt_i32_e32 0, v2
	s_xor_b32 s0, exec_lo, s0
	s_cbranch_execz .LBB4_105
; %bb.102:
	s_mov_b32 s16, exec_lo
	v_cmpx_eq_u32_e64 v46, v2
	s_cbranch_execz .LBB4_104
; %bb.103:
	v_lshlrev_b64 v[2:3], 3, v[20:21]
	v_add_nc_u32_e32 v18, 1, v18
	v_add_co_u32 v2, vcc_lo, s14, v2
	v_add_co_ci_u32_e64 v3, null, s15, v3, vcc_lo
	global_load_dwordx2 v[2:3], v[2:3], off offset:8
	s_waitcnt vmcnt(0)
	v_div_scale_f64 v[4:5], null, v[0:1], v[0:1], v[2:3]
	v_rcp_f64_e32 v[6:7], v[4:5]
	v_fma_f64 v[10:11], -v[4:5], v[6:7], 1.0
	v_fma_f64 v[6:7], v[6:7], v[10:11], v[6:7]
	v_fma_f64 v[10:11], -v[4:5], v[6:7], 1.0
	v_fma_f64 v[6:7], v[6:7], v[10:11], v[6:7]
	v_div_scale_f64 v[10:11], vcc_lo, v[2:3], v[0:1], v[2:3]
	v_mul_f64 v[12:13], v[10:11], v[6:7]
	v_fma_f64 v[4:5], -v[4:5], v[12:13], v[10:11]
	v_div_fmas_f64 v[4:5], v[4:5], v[6:7], v[12:13]
	v_div_fixup_f64 v[0:1], v[4:5], v[0:1], v[2:3]
	v_add_f64 v[8:9], v[8:9], v[0:1]
.LBB4_104:
	s_or_b32 exec_lo, exec_lo, s16
                                        ; implicit-def: $vgpr2
                                        ; implicit-def: $vgpr0_vgpr1
                                        ; implicit-def: $vgpr35
.LBB4_105:
	s_andn2_saveexec_b32 s16, s0
	s_cbranch_execz .LBB4_115
; %bb.106:
	v_sub_nc_u32_e32 v5, 1, v2
	v_sub_nc_u32_e32 v3, 0, v2
	v_mov_b32_e32 v4, 0
	s_mov_b32 s18, 0
	s_mov_b32 s17, exec_lo
	v_ashrrev_i32_e32 v6, 31, v5
	v_lshlrev_b64 v[2:3], 2, v[3:4]
	v_lshlrev_b64 v[4:5], 2, v[5:6]
	v_add_co_u32 v2, vcc_lo, s8, v2
	v_add_co_ci_u32_e64 v3, null, s9, v3, vcc_lo
	v_add_co_u32 v4, vcc_lo, s8, v4
	v_add_co_ci_u32_e64 v5, null, s9, v5, vcc_lo
	s_clause 0x1
	global_load_dword v2, v[2:3], off
	global_load_dword v10, v[4:5], off
	s_waitcnt vmcnt(0)
	v_cmpx_lt_i32_e64 v2, v10
	s_cbranch_execz .LBB4_114
; %bb.107:
	v_ashrrev_i32_e32 v3, 31, v2
                                        ; implicit-def: $sgpr19
                                        ; implicit-def: $sgpr21
                                        ; implicit-def: $sgpr20
	v_lshlrev_b64 v[4:5], 2, v[2:3]
	v_add_co_u32 v4, vcc_lo, s12, v4
	v_add_co_ci_u32_e64 v5, null, s13, v5, vcc_lo
	s_inst_prefetch 0x1
	s_branch .LBB4_109
	.p2align	6
.LBB4_108:                              ;   in Loop: Header=BB4_109 Depth=1
	s_or_b32 exec_lo, exec_lo, s22
	s_and_b32 s0, exec_lo, s21
	s_or_b32 s18, s0, s18
	s_andn2_b32 s0, s19, exec_lo
	s_and_b32 s19, s20, exec_lo
	s_or_b32 s19, s0, s19
	s_andn2_b32 exec_lo, exec_lo, s18
	s_cbranch_execz .LBB4_111
.LBB4_109:                              ; =>This Inner Loop Header: Depth=1
	global_load_dword v11, v[4:5], off
	v_mov_b32_e32 v7, v3
	v_mov_b32_e32 v6, v2
	s_or_b32 s20, s20, exec_lo
	s_or_b32 s21, s21, exec_lo
	s_mov_b32 s22, exec_lo
                                        ; implicit-def: $vgpr2_vgpr3
	s_waitcnt vmcnt(0)
	v_cmpx_ne_u32_e64 v11, v35
	s_cbranch_execz .LBB4_108
; %bb.110:                              ;   in Loop: Header=BB4_109 Depth=1
	v_add_co_u32 v2, vcc_lo, v6, 1
	v_add_co_ci_u32_e64 v3, null, 0, v7, vcc_lo
	v_add_co_u32 v4, s0, v4, 4
	v_cmp_ge_i32_e32 vcc_lo, v2, v10
	v_add_co_ci_u32_e64 v5, null, 0, v5, s0
	s_andn2_b32 s0, s21, exec_lo
	s_andn2_b32 s20, s20, exec_lo
	s_and_b32 s21, vcc_lo, exec_lo
	s_or_b32 s21, s0, s21
	s_branch .LBB4_108
.LBB4_111:
	s_inst_prefetch 0x2
	s_or_b32 exec_lo, exec_lo, s18
	s_and_saveexec_b32 s0, s19
	s_xor_b32 s0, exec_lo, s0
	s_cbranch_execz .LBB4_113
; %bb.112:
	v_lshlrev_b64 v[2:3], 3, v[6:7]
	v_add_nc_u32_e32 v18, 1, v18
	v_add_co_u32 v2, vcc_lo, s10, v2
	v_add_co_ci_u32_e64 v3, null, s11, v3, vcc_lo
	global_load_dwordx2 v[2:3], v[2:3], off
	s_waitcnt vmcnt(0)
	v_div_scale_f64 v[4:5], null, v[0:1], v[0:1], v[2:3]
	v_rcp_f64_e32 v[6:7], v[4:5]
	v_fma_f64 v[10:11], -v[4:5], v[6:7], 1.0
	v_fma_f64 v[6:7], v[6:7], v[10:11], v[6:7]
	v_fma_f64 v[10:11], -v[4:5], v[6:7], 1.0
	v_fma_f64 v[6:7], v[6:7], v[10:11], v[6:7]
	v_div_scale_f64 v[10:11], vcc_lo, v[2:3], v[0:1], v[2:3]
	v_mul_f64 v[12:13], v[10:11], v[6:7]
	v_fma_f64 v[4:5], -v[4:5], v[12:13], v[10:11]
	v_div_fmas_f64 v[4:5], v[4:5], v[6:7], v[12:13]
	v_div_fixup_f64 v[0:1], v[4:5], v[0:1], v[2:3]
	v_add_f64 v[8:9], v[8:9], v[0:1]
.LBB4_113:
	s_or_b32 exec_lo, exec_lo, s0
.LBB4_114:
	s_or_b32 exec_lo, exec_lo, s17
.LBB4_115:
	s_or_b32 exec_lo, exec_lo, s16
	v_cvt_f64_u32_e32 v[0:1], v18
                                        ; implicit-def: $vgpr18_vgpr19
                                        ; implicit-def: $vgpr14_vgpr15
                                        ; implicit-def: $vgpr12_vgpr13
                                        ; implicit-def: $vgpr44_vgpr45
                                        ; implicit-def: $vgpr46
                                        ; implicit-def: $vgpr42_vgpr43
                                        ; implicit-def: $vgpr34_vgpr35
                                        ; implicit-def: $vgpr25_vgpr26
                                        ; implicit-def: $vgpr27_vgpr28
                                        ; implicit-def: $vgpr40_vgpr41
                                        ; implicit-def: $vgpr32_vgpr33
                                        ; implicit-def: $vgpr38_vgpr39
                                        ; implicit-def: $vgpr36_vgpr37
                                        ; implicit-def: $vgpr20_vgpr21
                                        ; implicit-def: $vgpr30_vgpr31
	v_div_scale_f64 v[2:3], null, v[0:1], v[0:1], v[8:9]
	v_rcp_f64_e32 v[4:5], v[2:3]
	v_fma_f64 v[6:7], -v[2:3], v[4:5], 1.0
	v_fma_f64 v[4:5], v[4:5], v[6:7], v[4:5]
	v_fma_f64 v[6:7], -v[2:3], v[4:5], 1.0
	v_fma_f64 v[4:5], v[4:5], v[6:7], v[4:5]
	v_div_scale_f64 v[6:7], vcc_lo, v[8:9], v[0:1], v[8:9]
	v_mul_f64 v[10:11], v[6:7], v[4:5]
	v_fma_f64 v[2:3], -v[2:3], v[10:11], v[6:7]
                                        ; implicit-def: $vgpr6_vgpr7
	v_div_fmas_f64 v[2:3], v[2:3], v[4:5], v[10:11]
                                        ; implicit-def: $vgpr10_vgpr11
                                        ; implicit-def: $vgpr4_vgpr5
	v_div_fixup_f64 v[0:1], v[2:3], v[0:1], v[8:9]
	s_waitcnt lgkmcnt(0)
	v_add_co_u32 v2, vcc_lo, s6, v16
	v_add_co_ci_u32_e64 v3, null, s7, v17, vcc_lo
                                        ; implicit-def: $vgpr8_vgpr9
                                        ; implicit-def: $vgpr16_vgpr17
	global_store_dwordx2 v[2:3], v[0:1], off
                                        ; implicit-def: $vgpr2_vgpr3
                                        ; implicit-def: $vgpr0_vgpr1
.LBB4_116:
	s_andn2_saveexec_b32 s0, s1
	s_cbranch_execz .LBB4_238
; %bb.117:
	v_sub_nc_u32_e32 v22, 1, v46
	v_sub_nc_u32_e32 v62, 0, v46
	v_mov_b32_e32 v63, 0
	s_mov_b32 s18, 0
	v_ashrrev_i32_e32 v23, 31, v22
	v_lshlrev_b64 v[46:47], 2, v[62:63]
	v_lshlrev_b64 v[22:23], 2, v[22:23]
	v_add_co_u32 v46, vcc_lo, s8, v46
	v_add_co_ci_u32_e64 v47, null, s9, v47, vcc_lo
	v_add_co_u32 v48, vcc_lo, s8, v22
	v_add_co_ci_u32_e64 v49, null, s9, v23, vcc_lo
	s_clause 0x1
	global_load_dword v22, v[46:47], off
	global_load_dword v76, v[48:49], off
	s_waitcnt vmcnt(0)
	v_cmp_lt_i32_e32 vcc_lo, v22, v76
	s_and_b32 exec_lo, exec_lo, vcc_lo
	s_cbranch_execz .LBB4_238
; %bb.118:
	v_lshlrev_b64 v[23:24], 2, v[42:43]
	v_lshlrev_b64 v[25:26], 2, v[25:26]
	;; [unrolled: 1-line block ×3, first 2 shown]
	global_load_dword v58, v[44:45], off offset:4
	v_lshlrev_b64 v[38:39], 2, v[38:39]
	v_lshlrev_b64 v[20:21], 2, v[20:21]
	v_add_co_u32 v23, vcc_lo, s2, v23
	v_add_co_ci_u32_e64 v24, null, s3, v24, vcc_lo
	v_add_co_u32 v25, vcc_lo, s2, v25
	v_add_co_ci_u32_e64 v26, null, s3, v26, vcc_lo
	;; [unrolled: 2-line block ×3, first 2 shown]
	s_clause 0x2
	global_load_dword v44, v[23:24], off
	global_load_dwordx2 v[42:43], v[25:26], off
	global_load_dword v61, v[40:41], off
	v_add_co_u32 v23, vcc_lo, s2, v38
	v_add_co_ci_u32_e64 v24, null, s3, v39, vcc_lo
	v_add_co_u32 v20, vcc_lo, s2, v20
	v_add_co_ci_u32_e64 v21, null, s3, v21, vcc_lo
	s_clause 0x1
	global_load_dword v89, v[23:24], off
	global_load_dwordx2 v[59:60], v[20:21], off
	v_add_co_u32 v20, vcc_lo, s14, v34
	v_add_co_ci_u32_e64 v21, null, s15, v35, vcc_lo
	v_add_co_u32 v24, vcc_lo, s14, v27
	v_add_co_ci_u32_e64 v25, null, s15, v28, vcc_lo
	;; [unrolled: 2-line block ×6, first 2 shown]
	s_load_dwordx2 s[16:17], s[4:5], 0x30
	v_ashrrev_i32_e32 v23, 31, v22
	v_lshlrev_b64 v[66:67], 2, v[22:23]
	v_mov_b32_e32 v33, v23
	v_mov_b32_e32 v32, v22
	s_waitcnt vmcnt(5)
	v_sub_nc_u32_e32 v34, 1, v58
	v_cmp_lt_i32_e64 s0, 0, v58
	v_add_nc_u32_e32 v77, -1, v58
	v_ashrrev_i32_e32 v35, 31, v34
	v_lshlrev_b64 v[34:35], 2, v[34:35]
	s_waitcnt vmcnt(4)
	v_sub_nc_u32_e32 v36, 1, v44
	v_sub_nc_u32_e32 v62, 0, v44
	s_waitcnt vmcnt(3)
	v_sub_nc_u32_e32 v38, 1, v42
	v_sub_nc_u32_e32 v40, 1, v43
	v_cmp_lt_i32_e64 s1, 0, v44
	v_ashrrev_i32_e32 v37, 31, v36
	v_lshlrev_b64 v[52:53], 2, v[62:63]
	v_sub_nc_u32_e32 v62, 0, v42
	v_add_nc_u32_e32 v78, -1, v44
	s_waitcnt vmcnt(2)
	v_sub_nc_u32_e32 v44, 1, v61
	v_ashrrev_i32_e32 v39, 31, v38
	v_lshlrev_b64 v[54:55], 2, v[36:37]
	s_waitcnt vmcnt(1)
	v_sub_nc_u32_e32 v46, 1, v89
	v_ashrrev_i32_e32 v41, 31, v40
	s_waitcnt vmcnt(0)
	v_sub_nc_u32_e32 v48, 1, v59
	v_add_co_u32 v34, vcc_lo, s8, v34
	v_lshlrev_b64 v[56:57], 2, v[62:63]
	v_ashrrev_i32_e32 v45, 31, v44
	v_sub_nc_u32_e32 v62, 0, v43
	v_sub_nc_u32_e32 v50, 1, v60
	v_add_co_ci_u32_e64 v35, null, s9, v35, vcc_lo
	v_lshlrev_b64 v[64:65], 2, v[38:39]
	v_add_co_u32 v36, vcc_lo, s8, v52
	v_ashrrev_i32_e32 v47, 31, v46
	v_lshlrev_b64 v[68:69], 2, v[40:41]
	v_add_co_ci_u32_e64 v37, null, s9, v53, vcc_lo
	v_add_co_u32 v38, vcc_lo, s8, v54
	v_ashrrev_i32_e32 v49, 31, v48
	v_lshlrev_b64 v[70:71], 2, v[44:45]
	v_lshlrev_b64 v[87:88], 2, v[62:63]
	v_sub_nc_u32_e32 v62, 0, v61
	v_add_co_ci_u32_e64 v39, null, s9, v55, vcc_lo
	v_add_co_u32 v40, vcc_lo, s8, v56
	v_ashrrev_i32_e32 v51, 31, v50
	v_cmp_lt_i32_e64 s2, 0, v42
	v_add_nc_u32_e32 v79, -1, v42
	v_lshlrev_b64 v[72:73], 2, v[46:47]
	v_add_co_ci_u32_e64 v41, null, s9, v57, vcc_lo
	v_add_co_u32 v42, vcc_lo, s8, v64
	v_cmp_lt_i32_e64 s3, 0, v43
	v_add_nc_u32_e32 v80, -1, v43
	v_lshlrev_b64 v[74:75], 2, v[48:49]
	v_add_co_ci_u32_e64 v43, null, s9, v65, vcc_lo
	v_add_co_u32 v44, vcc_lo, s8, v68
	v_lshlrev_b64 v[56:57], 2, v[62:63]
	v_sub_nc_u32_e32 v62, 0, v58
	v_lshlrev_b64 v[85:86], 2, v[50:51]
	v_add_co_ci_u32_e64 v45, null, s9, v69, vcc_lo
	v_add_co_u32 v46, vcc_lo, s8, v70
	v_add_co_ci_u32_e64 v47, null, s9, v71, vcc_lo
	v_add_co_u32 v48, vcc_lo, s8, v72
	;; [unrolled: 2-line block ×3, first 2 shown]
	v_lshlrev_b64 v[64:65], 2, v[62:63]
	v_sub_nc_u32_e32 v62, 0, v89
	v_add_co_ci_u32_e64 v51, null, s9, v75, vcc_lo
	v_add_co_u32 v52, vcc_lo, s8, v85
	v_add_co_ci_u32_e64 v53, null, s9, v86, vcc_lo
	v_add_co_u32 v54, vcc_lo, s8, v87
	v_lshlrev_b64 v[68:69], 2, v[62:63]
	v_sub_nc_u32_e32 v62, 0, v59
	v_add_co_ci_u32_e64 v55, null, s9, v88, vcc_lo
	v_add_co_u32 v56, vcc_lo, s8, v56
	v_add_co_ci_u32_e64 v57, null, s9, v57, vcc_lo
	v_add_co_u32 v58, vcc_lo, s8, v64
	v_cmp_lt_i32_e64 s6, 0, v59
	v_add_nc_u32_e32 v83, -1, v59
	v_add_co_ci_u32_e64 v59, null, s9, v65, vcc_lo
	v_lshlrev_b64 v[64:65], 2, v[62:63]
	v_sub_nc_u32_e32 v62, 0, v60
	v_cmp_lt_i32_e64 s7, 0, v60
	v_add_nc_u32_e32 v84, -1, v60
	v_add_co_u32 v60, vcc_lo, s8, v68
	v_cmp_lt_i32_e64 s4, 0, v61
	v_add_nc_u32_e32 v81, -1, v61
	v_add_co_ci_u32_e64 v61, null, s9, v69, vcc_lo
	v_lshlrev_b64 v[68:69], 2, v[62:63]
	v_add_co_u32 v62, vcc_lo, s8, v64
	v_add_co_ci_u32_e64 v63, null, s9, v65, vcc_lo
	v_cmp_lt_i32_e64 s5, 0, v89
	v_add_co_u32 v64, vcc_lo, s8, v68
	v_add_co_ci_u32_e64 v65, null, s9, v69, vcc_lo
	v_add_co_u32 v66, vcc_lo, s12, v66
	v_add_nc_u32_e32 v82, -1, v89
	v_add_co_ci_u32_e64 v67, null, s13, v67, vcc_lo
	s_branch .LBB4_122
.LBB4_119:                              ;   in Loop: Header=BB4_122 Depth=1
	s_or_b32 exec_lo, exec_lo, s8
.LBB4_120:                              ;   in Loop: Header=BB4_122 Depth=1
	s_or_b32 exec_lo, exec_lo, s14
.LBB4_121:                              ;   in Loop: Header=BB4_122 Depth=1
	s_or_b32 exec_lo, exec_lo, s9
	v_cvt_f64_u32_e32 v[70:71], v86
	v_div_scale_f64 v[72:73], null, v[70:71], v[70:71], v[68:69]
	v_rcp_f64_e32 v[74:75], v[72:73]
	v_fma_f64 v[85:86], -v[72:73], v[74:75], 1.0
	v_fma_f64 v[74:75], v[74:75], v[85:86], v[74:75]
	v_fma_f64 v[85:86], -v[72:73], v[74:75], 1.0
	v_fma_f64 v[74:75], v[74:75], v[85:86], v[74:75]
	v_div_scale_f64 v[85:86], vcc_lo, v[68:69], v[70:71], v[68:69]
	v_mul_f64 v[87:88], v[85:86], v[74:75]
	v_fma_f64 v[72:73], -v[72:73], v[87:88], v[85:86]
	v_div_fmas_f64 v[72:73], v[72:73], v[74:75], v[87:88]
	v_div_fixup_f64 v[68:69], v[72:73], v[70:71], v[68:69]
	v_lshlrev_b64 v[70:71], 3, v[22:23]
	v_add_nc_u32_e32 v22, 1, v22
	v_cmp_ge_i32_e32 vcc_lo, v22, v76
	s_waitcnt lgkmcnt(0)
	v_add_co_u32 v70, s8, s16, v70
	v_add_co_ci_u32_e64 v71, null, s17, v71, s8
	s_or_b32 s18, vcc_lo, s18
	global_store_dwordx2 v[70:71], v[68:69], off
	s_andn2_b32 exec_lo, exec_lo, s18
	s_cbranch_execz .LBB4_238
.LBB4_122:                              ; =>This Loop Header: Depth=1
                                        ;     Child Loop BB4_136 Depth 2
                                        ;     Child Loop BB4_148 Depth 2
	;; [unrolled: 1-line block ×9, first 2 shown]
	v_ashrrev_i32_e32 v23, 31, v22
                                        ; implicit-def: $vgpr86
	v_lshlrev_b64 v[68:69], 2, v[22:23]
	v_add_co_u32 v68, vcc_lo, s12, v68
	v_add_co_ci_u32_e64 v69, null, s13, v69, vcc_lo
	global_load_dword v85, v[68:69], off
                                        ; implicit-def: $vgpr68_vgpr69
	s_and_saveexec_b32 s8, s1
	s_xor_b32 s8, exec_lo, s8
	s_cbranch_execnz .LBB4_130
; %bb.123:                              ;   in Loop: Header=BB4_122 Depth=1
	s_andn2_saveexec_b32 s9, s8
	s_cbranch_execnz .LBB4_133
.LBB4_124:                              ;   in Loop: Header=BB4_122 Depth=1
	s_or_b32 exec_lo, exec_lo, s9
	s_and_saveexec_b32 s8, s2
	s_xor_b32 s8, exec_lo, s8
	s_cbranch_execnz .LBB4_142
.LBB4_125:                              ;   in Loop: Header=BB4_122 Depth=1
	s_andn2_saveexec_b32 s9, s8
	s_cbranch_execnz .LBB4_145
.LBB4_126:                              ;   in Loop: Header=BB4_122 Depth=1
	s_or_b32 exec_lo, exec_lo, s9
	s_and_saveexec_b32 s8, s3
	s_xor_b32 s8, exec_lo, s8
	s_cbranch_execnz .LBB4_154
.LBB4_127:                              ;   in Loop: Header=BB4_122 Depth=1
	s_andn2_saveexec_b32 s9, s8
	s_cbranch_execnz .LBB4_157
.LBB4_128:                              ;   in Loop: Header=BB4_122 Depth=1
	s_or_b32 exec_lo, exec_lo, s9
	s_and_saveexec_b32 s8, s4
	s_xor_b32 s8, exec_lo, s8
	s_cbranch_execnz .LBB4_166
.LBB4_129:                              ;   in Loop: Header=BB4_122 Depth=1
	s_andn2_saveexec_b32 s9, s8
	s_cbranch_execnz .LBB4_169
	s_branch .LBB4_178
.LBB4_130:                              ;   in Loop: Header=BB4_122 Depth=1
	v_mov_b32_e32 v68, 0
	v_mov_b32_e32 v69, 0
	;; [unrolled: 1-line block ×3, first 2 shown]
	s_mov_b32 s9, exec_lo
	s_waitcnt vmcnt(0)
	v_cmpx_eq_u32_e64 v85, v78
	s_cbranch_execz .LBB4_132
; %bb.131:                              ;   in Loop: Header=BB4_122 Depth=1
	global_load_dwordx2 v[68:69], v[20:21], off
	s_waitcnt vmcnt(0)
	v_div_scale_f64 v[70:71], null, v[18:19], v[18:19], v[68:69]
	v_rcp_f64_e32 v[72:73], v[70:71]
	v_fma_f64 v[74:75], -v[70:71], v[72:73], 1.0
	v_fma_f64 v[72:73], v[72:73], v[74:75], v[72:73]
	v_fma_f64 v[74:75], -v[70:71], v[72:73], 1.0
	v_fma_f64 v[72:73], v[72:73], v[74:75], v[72:73]
	v_div_scale_f64 v[74:75], vcc_lo, v[68:69], v[18:19], v[68:69]
	v_mul_f64 v[86:87], v[74:75], v[72:73]
	v_fma_f64 v[70:71], -v[70:71], v[86:87], v[74:75]
	v_div_fmas_f64 v[70:71], v[70:71], v[72:73], v[86:87]
	v_mov_b32_e32 v86, 1
	v_div_fixup_f64 v[68:69], v[70:71], v[18:19], v[68:69]
	v_add_f64 v[68:69], v[68:69], 0
.LBB4_132:                              ;   in Loop: Header=BB4_122 Depth=1
	s_or_b32 exec_lo, exec_lo, s9
	s_andn2_saveexec_b32 s9, s8
	s_cbranch_execz .LBB4_124
.LBB4_133:                              ;   in Loop: Header=BB4_122 Depth=1
	s_clause 0x1
	global_load_dword v70, v[36:37], off
	global_load_dword v74, v[38:39], off
	v_mov_b32_e32 v68, 0
	v_mov_b32_e32 v69, 0
	;; [unrolled: 1-line block ×3, first 2 shown]
	s_mov_b32 s14, exec_lo
	s_waitcnt vmcnt(0)
	v_cmpx_lt_i32_e64 v70, v74
	s_cbranch_execz .LBB4_141
; %bb.134:                              ;   in Loop: Header=BB4_122 Depth=1
	v_ashrrev_i32_e32 v71, 31, v70
	s_mov_b32 s19, 0
                                        ; implicit-def: $sgpr15
                                        ; implicit-def: $sgpr21
                                        ; implicit-def: $sgpr20
	v_lshlrev_b64 v[68:69], 2, v[70:71]
	v_add_co_u32 v68, vcc_lo, s12, v68
	v_add_co_ci_u32_e64 v69, null, s13, v69, vcc_lo
	s_inst_prefetch 0x1
	s_branch .LBB4_136
	.p2align	6
.LBB4_135:                              ;   in Loop: Header=BB4_136 Depth=2
	s_or_b32 exec_lo, exec_lo, s22
	s_and_b32 s8, exec_lo, s21
	s_or_b32 s19, s8, s19
	s_andn2_b32 s8, s15, exec_lo
	s_and_b32 s15, s20, exec_lo
	s_or_b32 s15, s8, s15
	s_andn2_b32 exec_lo, exec_lo, s19
	s_cbranch_execz .LBB4_138
.LBB4_136:                              ;   Parent Loop BB4_122 Depth=1
                                        ; =>  This Inner Loop Header: Depth=2
	global_load_dword v75, v[68:69], off
	v_mov_b32_e32 v73, v71
	v_mov_b32_e32 v72, v70
	s_or_b32 s20, s20, exec_lo
	s_or_b32 s21, s21, exec_lo
	s_mov_b32 s22, exec_lo
                                        ; implicit-def: $vgpr70_vgpr71
	s_waitcnt vmcnt(0)
	v_cmpx_ne_u32_e64 v75, v85
	s_cbranch_execz .LBB4_135
; %bb.137:                              ;   in Loop: Header=BB4_136 Depth=2
	v_add_co_u32 v70, vcc_lo, v72, 1
	v_add_co_ci_u32_e64 v71, null, 0, v73, vcc_lo
	v_add_co_u32 v68, s8, v68, 4
	v_cmp_ge_i32_e32 vcc_lo, v70, v74
	v_add_co_ci_u32_e64 v69, null, 0, v69, s8
	s_andn2_b32 s8, s21, exec_lo
	s_andn2_b32 s20, s20, exec_lo
	s_and_b32 s21, vcc_lo, exec_lo
	s_or_b32 s21, s8, s21
	s_branch .LBB4_135
.LBB4_138:                              ;   in Loop: Header=BB4_122 Depth=1
	s_inst_prefetch 0x2
	s_or_b32 exec_lo, exec_lo, s19
	v_mov_b32_e32 v68, 0
	v_mov_b32_e32 v69, 0
	;; [unrolled: 1-line block ×3, first 2 shown]
	s_and_saveexec_b32 s8, s15
	s_xor_b32 s8, exec_lo, s8
	s_cbranch_execz .LBB4_140
; %bb.139:                              ;   in Loop: Header=BB4_122 Depth=1
	v_lshlrev_b64 v[68:69], 3, v[72:73]
	v_add_co_u32 v68, vcc_lo, s10, v68
	v_add_co_ci_u32_e64 v69, null, s11, v69, vcc_lo
	global_load_dwordx2 v[68:69], v[68:69], off
	s_waitcnt vmcnt(0)
	v_div_scale_f64 v[70:71], null, v[18:19], v[18:19], v[68:69]
	v_rcp_f64_e32 v[72:73], v[70:71]
	v_fma_f64 v[74:75], -v[70:71], v[72:73], 1.0
	v_fma_f64 v[72:73], v[72:73], v[74:75], v[72:73]
	v_fma_f64 v[74:75], -v[70:71], v[72:73], 1.0
	v_fma_f64 v[72:73], v[72:73], v[74:75], v[72:73]
	v_div_scale_f64 v[74:75], vcc_lo, v[68:69], v[18:19], v[68:69]
	v_mul_f64 v[86:87], v[74:75], v[72:73]
	v_fma_f64 v[70:71], -v[70:71], v[86:87], v[74:75]
	v_div_fmas_f64 v[70:71], v[70:71], v[72:73], v[86:87]
	v_mov_b32_e32 v86, 1
	v_div_fixup_f64 v[68:69], v[70:71], v[18:19], v[68:69]
	v_add_f64 v[68:69], v[68:69], 0
.LBB4_140:                              ;   in Loop: Header=BB4_122 Depth=1
	s_or_b32 exec_lo, exec_lo, s8
.LBB4_141:                              ;   in Loop: Header=BB4_122 Depth=1
	s_or_b32 exec_lo, exec_lo, s14
	s_or_b32 exec_lo, exec_lo, s9
	s_and_saveexec_b32 s8, s2
	s_xor_b32 s8, exec_lo, s8
	s_cbranch_execz .LBB4_125
.LBB4_142:                              ;   in Loop: Header=BB4_122 Depth=1
	s_mov_b32 s9, exec_lo
	s_waitcnt vmcnt(0)
	v_cmpx_eq_u32_e64 v85, v79
	s_cbranch_execz .LBB4_144
; %bb.143:                              ;   in Loop: Header=BB4_122 Depth=1
	global_load_dwordx2 v[70:71], v[24:25], off
	v_add_nc_u32_e32 v86, 1, v86
	s_waitcnt vmcnt(0)
	v_div_scale_f64 v[72:73], null, v[14:15], v[14:15], v[70:71]
	v_rcp_f64_e32 v[74:75], v[72:73]
	v_fma_f64 v[87:88], -v[72:73], v[74:75], 1.0
	v_fma_f64 v[74:75], v[74:75], v[87:88], v[74:75]
	v_fma_f64 v[87:88], -v[72:73], v[74:75], 1.0
	v_fma_f64 v[74:75], v[74:75], v[87:88], v[74:75]
	v_div_scale_f64 v[87:88], vcc_lo, v[70:71], v[14:15], v[70:71]
	v_mul_f64 v[89:90], v[87:88], v[74:75]
	v_fma_f64 v[72:73], -v[72:73], v[89:90], v[87:88]
	v_div_fmas_f64 v[72:73], v[72:73], v[74:75], v[89:90]
	v_div_fixup_f64 v[70:71], v[72:73], v[14:15], v[70:71]
	v_add_f64 v[68:69], v[68:69], v[70:71]
.LBB4_144:                              ;   in Loop: Header=BB4_122 Depth=1
	s_or_b32 exec_lo, exec_lo, s9
	s_andn2_saveexec_b32 s9, s8
	s_cbranch_execz .LBB4_126
.LBB4_145:                              ;   in Loop: Header=BB4_122 Depth=1
	s_clause 0x1
	global_load_dword v70, v[40:41], off
	global_load_dword v87, v[42:43], off
	s_mov_b32 s14, exec_lo
	s_waitcnt vmcnt(0)
	v_cmpx_lt_i32_e64 v70, v87
	s_cbranch_execz .LBB4_153
; %bb.146:                              ;   in Loop: Header=BB4_122 Depth=1
	v_ashrrev_i32_e32 v71, 31, v70
	s_mov_b32 s19, 0
                                        ; implicit-def: $sgpr15
                                        ; implicit-def: $sgpr21
                                        ; implicit-def: $sgpr20
	v_lshlrev_b64 v[72:73], 2, v[70:71]
	v_add_co_u32 v72, vcc_lo, s12, v72
	v_add_co_ci_u32_e64 v73, null, s13, v73, vcc_lo
	s_inst_prefetch 0x1
	s_branch .LBB4_148
	.p2align	6
.LBB4_147:                              ;   in Loop: Header=BB4_148 Depth=2
	s_or_b32 exec_lo, exec_lo, s22
	s_and_b32 s8, exec_lo, s21
	s_or_b32 s19, s8, s19
	s_andn2_b32 s8, s15, exec_lo
	s_and_b32 s15, s20, exec_lo
	s_or_b32 s15, s8, s15
	s_andn2_b32 exec_lo, exec_lo, s19
	s_cbranch_execz .LBB4_150
.LBB4_148:                              ;   Parent Loop BB4_122 Depth=1
                                        ; =>  This Inner Loop Header: Depth=2
	global_load_dword v88, v[72:73], off
	v_mov_b32_e32 v75, v71
	v_mov_b32_e32 v74, v70
	s_or_b32 s20, s20, exec_lo
	s_or_b32 s21, s21, exec_lo
	s_mov_b32 s22, exec_lo
                                        ; implicit-def: $vgpr70_vgpr71
	s_waitcnt vmcnt(0)
	v_cmpx_ne_u32_e64 v88, v85
	s_cbranch_execz .LBB4_147
; %bb.149:                              ;   in Loop: Header=BB4_148 Depth=2
	v_add_co_u32 v70, vcc_lo, v74, 1
	v_add_co_ci_u32_e64 v71, null, 0, v75, vcc_lo
	v_add_co_u32 v72, s8, v72, 4
	v_cmp_ge_i32_e32 vcc_lo, v70, v87
	v_add_co_ci_u32_e64 v73, null, 0, v73, s8
	s_andn2_b32 s8, s21, exec_lo
	s_andn2_b32 s20, s20, exec_lo
	s_and_b32 s21, vcc_lo, exec_lo
	s_or_b32 s21, s8, s21
	s_branch .LBB4_147
.LBB4_150:                              ;   in Loop: Header=BB4_122 Depth=1
	s_inst_prefetch 0x2
	s_or_b32 exec_lo, exec_lo, s19
	s_and_saveexec_b32 s8, s15
	s_xor_b32 s8, exec_lo, s8
	s_cbranch_execz .LBB4_152
; %bb.151:                              ;   in Loop: Header=BB4_122 Depth=1
	v_lshlrev_b64 v[70:71], 3, v[74:75]
	v_add_nc_u32_e32 v86, 1, v86
	v_add_co_u32 v70, vcc_lo, s10, v70
	v_add_co_ci_u32_e64 v71, null, s11, v71, vcc_lo
	global_load_dwordx2 v[70:71], v[70:71], off
	s_waitcnt vmcnt(0)
	v_div_scale_f64 v[72:73], null, v[14:15], v[14:15], v[70:71]
	v_rcp_f64_e32 v[74:75], v[72:73]
	v_fma_f64 v[87:88], -v[72:73], v[74:75], 1.0
	v_fma_f64 v[74:75], v[74:75], v[87:88], v[74:75]
	v_fma_f64 v[87:88], -v[72:73], v[74:75], 1.0
	v_fma_f64 v[74:75], v[74:75], v[87:88], v[74:75]
	v_div_scale_f64 v[87:88], vcc_lo, v[70:71], v[14:15], v[70:71]
	v_mul_f64 v[89:90], v[87:88], v[74:75]
	v_fma_f64 v[72:73], -v[72:73], v[89:90], v[87:88]
	v_div_fmas_f64 v[72:73], v[72:73], v[74:75], v[89:90]
	v_div_fixup_f64 v[70:71], v[72:73], v[14:15], v[70:71]
	v_add_f64 v[68:69], v[68:69], v[70:71]
.LBB4_152:                              ;   in Loop: Header=BB4_122 Depth=1
	s_or_b32 exec_lo, exec_lo, s8
.LBB4_153:                              ;   in Loop: Header=BB4_122 Depth=1
	s_or_b32 exec_lo, exec_lo, s14
	s_or_b32 exec_lo, exec_lo, s9
	s_and_saveexec_b32 s8, s3
	s_xor_b32 s8, exec_lo, s8
	s_cbranch_execz .LBB4_127
.LBB4_154:                              ;   in Loop: Header=BB4_122 Depth=1
	s_mov_b32 s9, exec_lo
	s_waitcnt vmcnt(0)
	v_cmpx_eq_u32_e64 v85, v80
	s_cbranch_execz .LBB4_156
; %bb.155:                              ;   in Loop: Header=BB4_122 Depth=1
	global_load_dwordx2 v[70:71], v[24:25], off offset:8
	v_add_nc_u32_e32 v86, 1, v86
	s_waitcnt vmcnt(0)
	v_div_scale_f64 v[72:73], null, v[12:13], v[12:13], v[70:71]
	v_rcp_f64_e32 v[74:75], v[72:73]
	v_fma_f64 v[87:88], -v[72:73], v[74:75], 1.0
	v_fma_f64 v[74:75], v[74:75], v[87:88], v[74:75]
	v_fma_f64 v[87:88], -v[72:73], v[74:75], 1.0
	v_fma_f64 v[74:75], v[74:75], v[87:88], v[74:75]
	v_div_scale_f64 v[87:88], vcc_lo, v[70:71], v[12:13], v[70:71]
	v_mul_f64 v[89:90], v[87:88], v[74:75]
	v_fma_f64 v[72:73], -v[72:73], v[89:90], v[87:88]
	v_div_fmas_f64 v[72:73], v[72:73], v[74:75], v[89:90]
	v_div_fixup_f64 v[70:71], v[72:73], v[12:13], v[70:71]
	v_add_f64 v[68:69], v[68:69], v[70:71]
.LBB4_156:                              ;   in Loop: Header=BB4_122 Depth=1
	s_or_b32 exec_lo, exec_lo, s9
	s_andn2_saveexec_b32 s9, s8
	s_cbranch_execz .LBB4_128
.LBB4_157:                              ;   in Loop: Header=BB4_122 Depth=1
	s_clause 0x1
	global_load_dword v70, v[54:55], off
	global_load_dword v87, v[44:45], off
	s_mov_b32 s14, exec_lo
	s_waitcnt vmcnt(0)
	v_cmpx_lt_i32_e64 v70, v87
	s_cbranch_execz .LBB4_165
; %bb.158:                              ;   in Loop: Header=BB4_122 Depth=1
	v_ashrrev_i32_e32 v71, 31, v70
	s_mov_b32 s19, 0
                                        ; implicit-def: $sgpr15
                                        ; implicit-def: $sgpr21
                                        ; implicit-def: $sgpr20
	v_lshlrev_b64 v[72:73], 2, v[70:71]
	v_add_co_u32 v72, vcc_lo, s12, v72
	v_add_co_ci_u32_e64 v73, null, s13, v73, vcc_lo
	s_inst_prefetch 0x1
	s_branch .LBB4_160
	.p2align	6
.LBB4_159:                              ;   in Loop: Header=BB4_160 Depth=2
	s_or_b32 exec_lo, exec_lo, s22
	s_and_b32 s8, exec_lo, s21
	s_or_b32 s19, s8, s19
	s_andn2_b32 s8, s15, exec_lo
	s_and_b32 s15, s20, exec_lo
	s_or_b32 s15, s8, s15
	s_andn2_b32 exec_lo, exec_lo, s19
	s_cbranch_execz .LBB4_162
.LBB4_160:                              ;   Parent Loop BB4_122 Depth=1
                                        ; =>  This Inner Loop Header: Depth=2
	global_load_dword v88, v[72:73], off
	v_mov_b32_e32 v75, v71
	v_mov_b32_e32 v74, v70
	s_or_b32 s20, s20, exec_lo
	s_or_b32 s21, s21, exec_lo
	s_mov_b32 s22, exec_lo
                                        ; implicit-def: $vgpr70_vgpr71
	s_waitcnt vmcnt(0)
	v_cmpx_ne_u32_e64 v88, v85
	s_cbranch_execz .LBB4_159
; %bb.161:                              ;   in Loop: Header=BB4_160 Depth=2
	v_add_co_u32 v70, vcc_lo, v74, 1
	v_add_co_ci_u32_e64 v71, null, 0, v75, vcc_lo
	v_add_co_u32 v72, s8, v72, 4
	v_cmp_ge_i32_e32 vcc_lo, v70, v87
	v_add_co_ci_u32_e64 v73, null, 0, v73, s8
	s_andn2_b32 s8, s21, exec_lo
	s_andn2_b32 s20, s20, exec_lo
	s_and_b32 s21, vcc_lo, exec_lo
	s_or_b32 s21, s8, s21
	s_branch .LBB4_159
.LBB4_162:                              ;   in Loop: Header=BB4_122 Depth=1
	s_inst_prefetch 0x2
	s_or_b32 exec_lo, exec_lo, s19
	s_and_saveexec_b32 s8, s15
	s_xor_b32 s8, exec_lo, s8
	s_cbranch_execz .LBB4_164
; %bb.163:                              ;   in Loop: Header=BB4_122 Depth=1
	v_lshlrev_b64 v[70:71], 3, v[74:75]
	v_add_nc_u32_e32 v86, 1, v86
	v_add_co_u32 v70, vcc_lo, s10, v70
	v_add_co_ci_u32_e64 v71, null, s11, v71, vcc_lo
	global_load_dwordx2 v[70:71], v[70:71], off
	s_waitcnt vmcnt(0)
	v_div_scale_f64 v[72:73], null, v[12:13], v[12:13], v[70:71]
	v_rcp_f64_e32 v[74:75], v[72:73]
	v_fma_f64 v[87:88], -v[72:73], v[74:75], 1.0
	v_fma_f64 v[74:75], v[74:75], v[87:88], v[74:75]
	v_fma_f64 v[87:88], -v[72:73], v[74:75], 1.0
	v_fma_f64 v[74:75], v[74:75], v[87:88], v[74:75]
	v_div_scale_f64 v[87:88], vcc_lo, v[70:71], v[12:13], v[70:71]
	v_mul_f64 v[89:90], v[87:88], v[74:75]
	v_fma_f64 v[72:73], -v[72:73], v[89:90], v[87:88]
	v_div_fmas_f64 v[72:73], v[72:73], v[74:75], v[89:90]
	v_div_fixup_f64 v[70:71], v[72:73], v[12:13], v[70:71]
	v_add_f64 v[68:69], v[68:69], v[70:71]
.LBB4_164:                              ;   in Loop: Header=BB4_122 Depth=1
	s_or_b32 exec_lo, exec_lo, s8
.LBB4_165:                              ;   in Loop: Header=BB4_122 Depth=1
	s_or_b32 exec_lo, exec_lo, s14
	s_or_b32 exec_lo, exec_lo, s9
	s_and_saveexec_b32 s8, s4
	s_xor_b32 s8, exec_lo, s8
	s_cbranch_execz .LBB4_129
.LBB4_166:                              ;   in Loop: Header=BB4_122 Depth=1
	s_mov_b32 s9, exec_lo
	s_waitcnt vmcnt(0)
	v_cmpx_eq_u32_e64 v85, v81
	s_cbranch_execz .LBB4_168
; %bb.167:                              ;   in Loop: Header=BB4_122 Depth=1
	global_load_dwordx2 v[70:71], v[26:27], off
	v_add_nc_u32_e32 v86, 1, v86
	s_waitcnt vmcnt(0)
	v_div_scale_f64 v[72:73], null, v[10:11], v[10:11], v[70:71]
	v_rcp_f64_e32 v[74:75], v[72:73]
	v_fma_f64 v[87:88], -v[72:73], v[74:75], 1.0
	v_fma_f64 v[74:75], v[74:75], v[87:88], v[74:75]
	v_fma_f64 v[87:88], -v[72:73], v[74:75], 1.0
	v_fma_f64 v[74:75], v[74:75], v[87:88], v[74:75]
	v_div_scale_f64 v[87:88], vcc_lo, v[70:71], v[10:11], v[70:71]
	v_mul_f64 v[89:90], v[87:88], v[74:75]
	v_fma_f64 v[72:73], -v[72:73], v[89:90], v[87:88]
	v_div_fmas_f64 v[72:73], v[72:73], v[74:75], v[89:90]
	v_div_fixup_f64 v[70:71], v[72:73], v[10:11], v[70:71]
	v_add_f64 v[68:69], v[68:69], v[70:71]
.LBB4_168:                              ;   in Loop: Header=BB4_122 Depth=1
	s_or_b32 exec_lo, exec_lo, s9
	s_andn2_saveexec_b32 s9, s8
	s_cbranch_execz .LBB4_178
.LBB4_169:                              ;   in Loop: Header=BB4_122 Depth=1
	s_clause 0x1
	global_load_dword v70, v[56:57], off
	global_load_dword v87, v[46:47], off
	s_mov_b32 s14, exec_lo
	s_waitcnt vmcnt(0)
	v_cmpx_lt_i32_e64 v70, v87
	s_cbranch_execz .LBB4_177
; %bb.170:                              ;   in Loop: Header=BB4_122 Depth=1
	v_ashrrev_i32_e32 v71, 31, v70
	s_mov_b32 s19, 0
                                        ; implicit-def: $sgpr15
                                        ; implicit-def: $sgpr21
                                        ; implicit-def: $sgpr20
	v_lshlrev_b64 v[72:73], 2, v[70:71]
	v_add_co_u32 v72, vcc_lo, s12, v72
	v_add_co_ci_u32_e64 v73, null, s13, v73, vcc_lo
	s_inst_prefetch 0x1
	s_branch .LBB4_172
	.p2align	6
.LBB4_171:                              ;   in Loop: Header=BB4_172 Depth=2
	s_or_b32 exec_lo, exec_lo, s22
	s_and_b32 s8, exec_lo, s21
	s_or_b32 s19, s8, s19
	s_andn2_b32 s8, s15, exec_lo
	s_and_b32 s15, s20, exec_lo
	s_or_b32 s15, s8, s15
	s_andn2_b32 exec_lo, exec_lo, s19
	s_cbranch_execz .LBB4_174
.LBB4_172:                              ;   Parent Loop BB4_122 Depth=1
                                        ; =>  This Inner Loop Header: Depth=2
	global_load_dword v88, v[72:73], off
	v_mov_b32_e32 v75, v71
	v_mov_b32_e32 v74, v70
	s_or_b32 s20, s20, exec_lo
	s_or_b32 s21, s21, exec_lo
	s_mov_b32 s22, exec_lo
                                        ; implicit-def: $vgpr70_vgpr71
	s_waitcnt vmcnt(0)
	v_cmpx_ne_u32_e64 v88, v85
	s_cbranch_execz .LBB4_171
; %bb.173:                              ;   in Loop: Header=BB4_172 Depth=2
	v_add_co_u32 v70, vcc_lo, v74, 1
	v_add_co_ci_u32_e64 v71, null, 0, v75, vcc_lo
	v_add_co_u32 v72, s8, v72, 4
	v_cmp_ge_i32_e32 vcc_lo, v70, v87
	v_add_co_ci_u32_e64 v73, null, 0, v73, s8
	s_andn2_b32 s8, s21, exec_lo
	s_andn2_b32 s20, s20, exec_lo
	s_and_b32 s21, vcc_lo, exec_lo
	s_or_b32 s21, s8, s21
	s_branch .LBB4_171
.LBB4_174:                              ;   in Loop: Header=BB4_122 Depth=1
	s_inst_prefetch 0x2
	s_or_b32 exec_lo, exec_lo, s19
	s_and_saveexec_b32 s8, s15
	s_xor_b32 s8, exec_lo, s8
	s_cbranch_execz .LBB4_176
; %bb.175:                              ;   in Loop: Header=BB4_122 Depth=1
	v_lshlrev_b64 v[70:71], 3, v[74:75]
	v_add_nc_u32_e32 v86, 1, v86
	v_add_co_u32 v70, vcc_lo, s10, v70
	v_add_co_ci_u32_e64 v71, null, s11, v71, vcc_lo
	global_load_dwordx2 v[70:71], v[70:71], off
	s_waitcnt vmcnt(0)
	v_div_scale_f64 v[72:73], null, v[10:11], v[10:11], v[70:71]
	v_rcp_f64_e32 v[74:75], v[72:73]
	v_fma_f64 v[87:88], -v[72:73], v[74:75], 1.0
	v_fma_f64 v[74:75], v[74:75], v[87:88], v[74:75]
	v_fma_f64 v[87:88], -v[72:73], v[74:75], 1.0
	v_fma_f64 v[74:75], v[74:75], v[87:88], v[74:75]
	v_div_scale_f64 v[87:88], vcc_lo, v[70:71], v[10:11], v[70:71]
	v_mul_f64 v[89:90], v[87:88], v[74:75]
	v_fma_f64 v[72:73], -v[72:73], v[89:90], v[87:88]
	v_div_fmas_f64 v[72:73], v[72:73], v[74:75], v[89:90]
	v_div_fixup_f64 v[70:71], v[72:73], v[10:11], v[70:71]
	v_add_f64 v[68:69], v[68:69], v[70:71]
.LBB4_176:                              ;   in Loop: Header=BB4_122 Depth=1
	s_or_b32 exec_lo, exec_lo, s8
.LBB4_177:                              ;   in Loop: Header=BB4_122 Depth=1
	s_or_b32 exec_lo, exec_lo, s14
.LBB4_178:                              ;   in Loop: Header=BB4_122 Depth=1
	s_or_b32 exec_lo, exec_lo, s9
	v_mov_b32_e32 v71, v67
	v_mov_b32_e32 v75, v33
	;; [unrolled: 1-line block ×4, first 2 shown]
	s_mov_b32 s14, 0
                                        ; implicit-def: $sgpr9
                                        ; implicit-def: $sgpr19
                                        ; implicit-def: $sgpr15
	s_inst_prefetch 0x1
	s_branch .LBB4_180
	.p2align	6
.LBB4_179:                              ;   in Loop: Header=BB4_180 Depth=2
	s_or_b32 exec_lo, exec_lo, s20
	s_and_b32 s8, exec_lo, s19
	s_or_b32 s14, s8, s14
	s_andn2_b32 s8, s9, exec_lo
	s_and_b32 s9, s15, exec_lo
	s_or_b32 s9, s8, s9
	s_andn2_b32 exec_lo, exec_lo, s14
	s_cbranch_execz .LBB4_182
.LBB4_180:                              ;   Parent Loop BB4_122 Depth=1
                                        ; =>  This Inner Loop Header: Depth=2
	global_load_dword v87, v[70:71], off
	v_mov_b32_e32 v72, v74
	v_mov_b32_e32 v73, v75
	s_or_b32 s15, s15, exec_lo
	s_or_b32 s19, s19, exec_lo
	s_mov_b32 s20, exec_lo
                                        ; implicit-def: $vgpr74_vgpr75
	s_waitcnt vmcnt(0)
	v_cmpx_ne_u32_e64 v87, v85
	s_cbranch_execz .LBB4_179
; %bb.181:                              ;   in Loop: Header=BB4_180 Depth=2
	v_add_co_u32 v74, vcc_lo, v72, 1
	v_add_co_ci_u32_e64 v75, null, 0, v73, vcc_lo
	v_add_co_u32 v70, s8, v70, 4
	v_cmp_ge_i32_e32 vcc_lo, v74, v76
	v_add_co_ci_u32_e64 v71, null, 0, v71, s8
	s_andn2_b32 s8, s19, exec_lo
	s_andn2_b32 s15, s15, exec_lo
	s_and_b32 s19, vcc_lo, exec_lo
	s_or_b32 s19, s8, s19
	s_branch .LBB4_179
.LBB4_182:                              ;   in Loop: Header=BB4_122 Depth=1
	s_inst_prefetch 0x2
	s_or_b32 exec_lo, exec_lo, s14
	s_and_saveexec_b32 s8, s9
	s_xor_b32 s8, exec_lo, s8
	s_cbranch_execnz .LBB4_191
; %bb.183:                              ;   in Loop: Header=BB4_122 Depth=1
	s_or_b32 exec_lo, exec_lo, s8
	s_and_saveexec_b32 s8, s0
	s_xor_b32 s8, exec_lo, s8
	s_cbranch_execnz .LBB4_192
.LBB4_184:                              ;   in Loop: Header=BB4_122 Depth=1
	s_andn2_saveexec_b32 s9, s8
	s_cbranch_execnz .LBB4_195
.LBB4_185:                              ;   in Loop: Header=BB4_122 Depth=1
	s_or_b32 exec_lo, exec_lo, s9
	s_and_saveexec_b32 s8, s5
	s_xor_b32 s8, exec_lo, s8
	s_cbranch_execnz .LBB4_204
.LBB4_186:                              ;   in Loop: Header=BB4_122 Depth=1
	s_andn2_saveexec_b32 s9, s8
	s_cbranch_execnz .LBB4_207
.LBB4_187:                              ;   in Loop: Header=BB4_122 Depth=1
	s_or_b32 exec_lo, exec_lo, s9
	s_and_saveexec_b32 s8, s6
	s_xor_b32 s8, exec_lo, s8
	s_cbranch_execnz .LBB4_216
.LBB4_188:                              ;   in Loop: Header=BB4_122 Depth=1
	s_andn2_saveexec_b32 s9, s8
	s_cbranch_execnz .LBB4_219
.LBB4_189:                              ;   in Loop: Header=BB4_122 Depth=1
	s_or_b32 exec_lo, exec_lo, s9
	s_and_saveexec_b32 s8, s7
	s_xor_b32 s8, exec_lo, s8
	s_cbranch_execnz .LBB4_228
.LBB4_190:                              ;   in Loop: Header=BB4_122 Depth=1
	s_andn2_saveexec_b32 s9, s8
	s_cbranch_execz .LBB4_121
	s_branch .LBB4_231
.LBB4_191:                              ;   in Loop: Header=BB4_122 Depth=1
	v_lshlrev_b64 v[70:71], 3, v[72:73]
	v_add_nc_u32_e32 v86, 1, v86
	v_add_co_u32 v70, vcc_lo, s10, v70
	v_add_co_ci_u32_e64 v71, null, s11, v71, vcc_lo
	global_load_dwordx2 v[70:71], v[70:71], off
	s_waitcnt vmcnt(0)
	v_div_scale_f64 v[72:73], null, v[8:9], v[8:9], v[70:71]
	v_rcp_f64_e32 v[74:75], v[72:73]
	v_fma_f64 v[87:88], -v[72:73], v[74:75], 1.0
	v_fma_f64 v[74:75], v[74:75], v[87:88], v[74:75]
	v_fma_f64 v[87:88], -v[72:73], v[74:75], 1.0
	v_fma_f64 v[74:75], v[74:75], v[87:88], v[74:75]
	v_div_scale_f64 v[87:88], vcc_lo, v[70:71], v[8:9], v[70:71]
	v_mul_f64 v[89:90], v[87:88], v[74:75]
	v_fma_f64 v[72:73], -v[72:73], v[89:90], v[87:88]
	v_div_fmas_f64 v[72:73], v[72:73], v[74:75], v[89:90]
	v_div_fixup_f64 v[70:71], v[72:73], v[8:9], v[70:71]
	v_add_f64 v[68:69], v[68:69], v[70:71]
	s_or_b32 exec_lo, exec_lo, s8
	s_and_saveexec_b32 s8, s0
	s_xor_b32 s8, exec_lo, s8
	s_cbranch_execz .LBB4_184
.LBB4_192:                              ;   in Loop: Header=BB4_122 Depth=1
	s_mov_b32 s9, exec_lo
	v_cmpx_eq_u32_e64 v85, v77
	s_cbranch_execz .LBB4_194
; %bb.193:                              ;   in Loop: Header=BB4_122 Depth=1
	global_load_dwordx2 v[70:71], v[16:17], off offset:8
	v_add_nc_u32_e32 v86, 1, v86
	s_waitcnt vmcnt(0)
	v_div_scale_f64 v[72:73], null, v[6:7], v[6:7], v[70:71]
	v_rcp_f64_e32 v[74:75], v[72:73]
	v_fma_f64 v[87:88], -v[72:73], v[74:75], 1.0
	v_fma_f64 v[74:75], v[74:75], v[87:88], v[74:75]
	v_fma_f64 v[87:88], -v[72:73], v[74:75], 1.0
	v_fma_f64 v[74:75], v[74:75], v[87:88], v[74:75]
	v_div_scale_f64 v[87:88], vcc_lo, v[70:71], v[6:7], v[70:71]
	v_mul_f64 v[89:90], v[87:88], v[74:75]
	v_fma_f64 v[72:73], -v[72:73], v[89:90], v[87:88]
	v_div_fmas_f64 v[72:73], v[72:73], v[74:75], v[89:90]
	v_div_fixup_f64 v[70:71], v[72:73], v[6:7], v[70:71]
	v_add_f64 v[68:69], v[68:69], v[70:71]
.LBB4_194:                              ;   in Loop: Header=BB4_122 Depth=1
	s_or_b32 exec_lo, exec_lo, s9
	s_andn2_saveexec_b32 s9, s8
	s_cbranch_execz .LBB4_185
.LBB4_195:                              ;   in Loop: Header=BB4_122 Depth=1
	s_clause 0x1
	global_load_dword v70, v[58:59], off
	global_load_dword v87, v[34:35], off
	s_mov_b32 s14, exec_lo
	s_waitcnt vmcnt(0)
	v_cmpx_lt_i32_e64 v70, v87
	s_cbranch_execz .LBB4_203
; %bb.196:                              ;   in Loop: Header=BB4_122 Depth=1
	v_ashrrev_i32_e32 v71, 31, v70
	s_mov_b32 s19, 0
                                        ; implicit-def: $sgpr15
                                        ; implicit-def: $sgpr21
                                        ; implicit-def: $sgpr20
	v_lshlrev_b64 v[72:73], 2, v[70:71]
	v_add_co_u32 v72, vcc_lo, s12, v72
	v_add_co_ci_u32_e64 v73, null, s13, v73, vcc_lo
	s_inst_prefetch 0x1
	s_branch .LBB4_198
	.p2align	6
.LBB4_197:                              ;   in Loop: Header=BB4_198 Depth=2
	s_or_b32 exec_lo, exec_lo, s22
	s_and_b32 s8, exec_lo, s21
	s_or_b32 s19, s8, s19
	s_andn2_b32 s8, s15, exec_lo
	s_and_b32 s15, s20, exec_lo
	s_or_b32 s15, s8, s15
	s_andn2_b32 exec_lo, exec_lo, s19
	s_cbranch_execz .LBB4_200
.LBB4_198:                              ;   Parent Loop BB4_122 Depth=1
                                        ; =>  This Inner Loop Header: Depth=2
	global_load_dword v88, v[72:73], off
	v_mov_b32_e32 v75, v71
	v_mov_b32_e32 v74, v70
	s_or_b32 s20, s20, exec_lo
	s_or_b32 s21, s21, exec_lo
	s_mov_b32 s22, exec_lo
                                        ; implicit-def: $vgpr70_vgpr71
	s_waitcnt vmcnt(0)
	v_cmpx_ne_u32_e64 v88, v85
	s_cbranch_execz .LBB4_197
; %bb.199:                              ;   in Loop: Header=BB4_198 Depth=2
	v_add_co_u32 v70, vcc_lo, v74, 1
	v_add_co_ci_u32_e64 v71, null, 0, v75, vcc_lo
	v_add_co_u32 v72, s8, v72, 4
	v_cmp_ge_i32_e32 vcc_lo, v70, v87
	v_add_co_ci_u32_e64 v73, null, 0, v73, s8
	s_andn2_b32 s8, s21, exec_lo
	s_andn2_b32 s20, s20, exec_lo
	s_and_b32 s21, vcc_lo, exec_lo
	s_or_b32 s21, s8, s21
	s_branch .LBB4_197
.LBB4_200:                              ;   in Loop: Header=BB4_122 Depth=1
	s_inst_prefetch 0x2
	s_or_b32 exec_lo, exec_lo, s19
	s_and_saveexec_b32 s8, s15
	s_xor_b32 s8, exec_lo, s8
	s_cbranch_execz .LBB4_202
; %bb.201:                              ;   in Loop: Header=BB4_122 Depth=1
	v_lshlrev_b64 v[70:71], 3, v[74:75]
	v_add_nc_u32_e32 v86, 1, v86
	v_add_co_u32 v70, vcc_lo, s10, v70
	v_add_co_ci_u32_e64 v71, null, s11, v71, vcc_lo
	global_load_dwordx2 v[70:71], v[70:71], off
	s_waitcnt vmcnt(0)
	v_div_scale_f64 v[72:73], null, v[6:7], v[6:7], v[70:71]
	v_rcp_f64_e32 v[74:75], v[72:73]
	v_fma_f64 v[87:88], -v[72:73], v[74:75], 1.0
	v_fma_f64 v[74:75], v[74:75], v[87:88], v[74:75]
	v_fma_f64 v[87:88], -v[72:73], v[74:75], 1.0
	v_fma_f64 v[74:75], v[74:75], v[87:88], v[74:75]
	v_div_scale_f64 v[87:88], vcc_lo, v[70:71], v[6:7], v[70:71]
	v_mul_f64 v[89:90], v[87:88], v[74:75]
	v_fma_f64 v[72:73], -v[72:73], v[89:90], v[87:88]
	v_div_fmas_f64 v[72:73], v[72:73], v[74:75], v[89:90]
	v_div_fixup_f64 v[70:71], v[72:73], v[6:7], v[70:71]
	v_add_f64 v[68:69], v[68:69], v[70:71]
.LBB4_202:                              ;   in Loop: Header=BB4_122 Depth=1
	s_or_b32 exec_lo, exec_lo, s8
.LBB4_203:                              ;   in Loop: Header=BB4_122 Depth=1
	s_or_b32 exec_lo, exec_lo, s14
	s_or_b32 exec_lo, exec_lo, s9
	s_and_saveexec_b32 s8, s5
	s_xor_b32 s8, exec_lo, s8
	s_cbranch_execz .LBB4_186
.LBB4_204:                              ;   in Loop: Header=BB4_122 Depth=1
	s_mov_b32 s9, exec_lo
	v_cmpx_eq_u32_e64 v85, v82
	s_cbranch_execz .LBB4_206
; %bb.205:                              ;   in Loop: Header=BB4_122 Depth=1
	global_load_dwordx2 v[70:71], v[28:29], off
	v_add_nc_u32_e32 v86, 1, v86
	s_waitcnt vmcnt(0)
	v_div_scale_f64 v[72:73], null, v[4:5], v[4:5], v[70:71]
	v_rcp_f64_e32 v[74:75], v[72:73]
	v_fma_f64 v[87:88], -v[72:73], v[74:75], 1.0
	v_fma_f64 v[74:75], v[74:75], v[87:88], v[74:75]
	v_fma_f64 v[87:88], -v[72:73], v[74:75], 1.0
	v_fma_f64 v[74:75], v[74:75], v[87:88], v[74:75]
	v_div_scale_f64 v[87:88], vcc_lo, v[70:71], v[4:5], v[70:71]
	v_mul_f64 v[89:90], v[87:88], v[74:75]
	v_fma_f64 v[72:73], -v[72:73], v[89:90], v[87:88]
	v_div_fmas_f64 v[72:73], v[72:73], v[74:75], v[89:90]
	v_div_fixup_f64 v[70:71], v[72:73], v[4:5], v[70:71]
	v_add_f64 v[68:69], v[68:69], v[70:71]
.LBB4_206:                              ;   in Loop: Header=BB4_122 Depth=1
	s_or_b32 exec_lo, exec_lo, s9
	s_andn2_saveexec_b32 s9, s8
	s_cbranch_execz .LBB4_187
.LBB4_207:                              ;   in Loop: Header=BB4_122 Depth=1
	s_clause 0x1
	global_load_dword v70, v[60:61], off
	global_load_dword v87, v[48:49], off
	s_mov_b32 s14, exec_lo
	s_waitcnt vmcnt(0)
	v_cmpx_lt_i32_e64 v70, v87
	s_cbranch_execz .LBB4_215
; %bb.208:                              ;   in Loop: Header=BB4_122 Depth=1
	v_ashrrev_i32_e32 v71, 31, v70
	s_mov_b32 s19, 0
                                        ; implicit-def: $sgpr15
                                        ; implicit-def: $sgpr21
                                        ; implicit-def: $sgpr20
	v_lshlrev_b64 v[72:73], 2, v[70:71]
	v_add_co_u32 v72, vcc_lo, s12, v72
	v_add_co_ci_u32_e64 v73, null, s13, v73, vcc_lo
	s_inst_prefetch 0x1
	s_branch .LBB4_210
	.p2align	6
.LBB4_209:                              ;   in Loop: Header=BB4_210 Depth=2
	s_or_b32 exec_lo, exec_lo, s22
	s_and_b32 s8, exec_lo, s21
	s_or_b32 s19, s8, s19
	s_andn2_b32 s8, s15, exec_lo
	s_and_b32 s15, s20, exec_lo
	s_or_b32 s15, s8, s15
	s_andn2_b32 exec_lo, exec_lo, s19
	s_cbranch_execz .LBB4_212
.LBB4_210:                              ;   Parent Loop BB4_122 Depth=1
                                        ; =>  This Inner Loop Header: Depth=2
	global_load_dword v88, v[72:73], off
	v_mov_b32_e32 v75, v71
	v_mov_b32_e32 v74, v70
	s_or_b32 s20, s20, exec_lo
	s_or_b32 s21, s21, exec_lo
	s_mov_b32 s22, exec_lo
                                        ; implicit-def: $vgpr70_vgpr71
	s_waitcnt vmcnt(0)
	v_cmpx_ne_u32_e64 v88, v85
	s_cbranch_execz .LBB4_209
; %bb.211:                              ;   in Loop: Header=BB4_210 Depth=2
	v_add_co_u32 v70, vcc_lo, v74, 1
	v_add_co_ci_u32_e64 v71, null, 0, v75, vcc_lo
	v_add_co_u32 v72, s8, v72, 4
	v_cmp_ge_i32_e32 vcc_lo, v70, v87
	v_add_co_ci_u32_e64 v73, null, 0, v73, s8
	s_andn2_b32 s8, s21, exec_lo
	s_andn2_b32 s20, s20, exec_lo
	s_and_b32 s21, vcc_lo, exec_lo
	s_or_b32 s21, s8, s21
	s_branch .LBB4_209
.LBB4_212:                              ;   in Loop: Header=BB4_122 Depth=1
	s_inst_prefetch 0x2
	s_or_b32 exec_lo, exec_lo, s19
	s_and_saveexec_b32 s8, s15
	s_xor_b32 s8, exec_lo, s8
	s_cbranch_execz .LBB4_214
; %bb.213:                              ;   in Loop: Header=BB4_122 Depth=1
	v_lshlrev_b64 v[70:71], 3, v[74:75]
	v_add_nc_u32_e32 v86, 1, v86
	v_add_co_u32 v70, vcc_lo, s10, v70
	v_add_co_ci_u32_e64 v71, null, s11, v71, vcc_lo
	global_load_dwordx2 v[70:71], v[70:71], off
	s_waitcnt vmcnt(0)
	v_div_scale_f64 v[72:73], null, v[4:5], v[4:5], v[70:71]
	v_rcp_f64_e32 v[74:75], v[72:73]
	v_fma_f64 v[87:88], -v[72:73], v[74:75], 1.0
	v_fma_f64 v[74:75], v[74:75], v[87:88], v[74:75]
	v_fma_f64 v[87:88], -v[72:73], v[74:75], 1.0
	v_fma_f64 v[74:75], v[74:75], v[87:88], v[74:75]
	v_div_scale_f64 v[87:88], vcc_lo, v[70:71], v[4:5], v[70:71]
	v_mul_f64 v[89:90], v[87:88], v[74:75]
	v_fma_f64 v[72:73], -v[72:73], v[89:90], v[87:88]
	v_div_fmas_f64 v[72:73], v[72:73], v[74:75], v[89:90]
	v_div_fixup_f64 v[70:71], v[72:73], v[4:5], v[70:71]
	v_add_f64 v[68:69], v[68:69], v[70:71]
.LBB4_214:                              ;   in Loop: Header=BB4_122 Depth=1
	s_or_b32 exec_lo, exec_lo, s8
.LBB4_215:                              ;   in Loop: Header=BB4_122 Depth=1
	s_or_b32 exec_lo, exec_lo, s14
	s_or_b32 exec_lo, exec_lo, s9
	s_and_saveexec_b32 s8, s6
	s_xor_b32 s8, exec_lo, s8
	s_cbranch_execz .LBB4_188
.LBB4_216:                              ;   in Loop: Header=BB4_122 Depth=1
	s_mov_b32 s9, exec_lo
	v_cmpx_eq_u32_e64 v85, v83
	s_cbranch_execz .LBB4_218
; %bb.217:                              ;   in Loop: Header=BB4_122 Depth=1
	global_load_dwordx2 v[70:71], v[30:31], off
	v_add_nc_u32_e32 v86, 1, v86
	s_waitcnt vmcnt(0)
	v_div_scale_f64 v[72:73], null, v[2:3], v[2:3], v[70:71]
	v_rcp_f64_e32 v[74:75], v[72:73]
	v_fma_f64 v[87:88], -v[72:73], v[74:75], 1.0
	v_fma_f64 v[74:75], v[74:75], v[87:88], v[74:75]
	v_fma_f64 v[87:88], -v[72:73], v[74:75], 1.0
	v_fma_f64 v[74:75], v[74:75], v[87:88], v[74:75]
	v_div_scale_f64 v[87:88], vcc_lo, v[70:71], v[2:3], v[70:71]
	v_mul_f64 v[89:90], v[87:88], v[74:75]
	v_fma_f64 v[72:73], -v[72:73], v[89:90], v[87:88]
	v_div_fmas_f64 v[72:73], v[72:73], v[74:75], v[89:90]
	v_div_fixup_f64 v[70:71], v[72:73], v[2:3], v[70:71]
	v_add_f64 v[68:69], v[68:69], v[70:71]
.LBB4_218:                              ;   in Loop: Header=BB4_122 Depth=1
	s_or_b32 exec_lo, exec_lo, s9
	s_andn2_saveexec_b32 s9, s8
	s_cbranch_execz .LBB4_189
.LBB4_219:                              ;   in Loop: Header=BB4_122 Depth=1
	s_clause 0x1
	global_load_dword v70, v[62:63], off
	global_load_dword v87, v[50:51], off
	s_mov_b32 s14, exec_lo
	s_waitcnt vmcnt(0)
	v_cmpx_lt_i32_e64 v70, v87
	s_cbranch_execz .LBB4_227
; %bb.220:                              ;   in Loop: Header=BB4_122 Depth=1
	v_ashrrev_i32_e32 v71, 31, v70
	s_mov_b32 s19, 0
                                        ; implicit-def: $sgpr15
                                        ; implicit-def: $sgpr21
                                        ; implicit-def: $sgpr20
	v_lshlrev_b64 v[72:73], 2, v[70:71]
	v_add_co_u32 v72, vcc_lo, s12, v72
	v_add_co_ci_u32_e64 v73, null, s13, v73, vcc_lo
	s_inst_prefetch 0x1
	s_branch .LBB4_222
	.p2align	6
.LBB4_221:                              ;   in Loop: Header=BB4_222 Depth=2
	s_or_b32 exec_lo, exec_lo, s22
	s_and_b32 s8, exec_lo, s21
	s_or_b32 s19, s8, s19
	s_andn2_b32 s8, s15, exec_lo
	s_and_b32 s15, s20, exec_lo
	s_or_b32 s15, s8, s15
	s_andn2_b32 exec_lo, exec_lo, s19
	s_cbranch_execz .LBB4_224
.LBB4_222:                              ;   Parent Loop BB4_122 Depth=1
                                        ; =>  This Inner Loop Header: Depth=2
	global_load_dword v88, v[72:73], off
	v_mov_b32_e32 v75, v71
	v_mov_b32_e32 v74, v70
	s_or_b32 s20, s20, exec_lo
	s_or_b32 s21, s21, exec_lo
	s_mov_b32 s22, exec_lo
                                        ; implicit-def: $vgpr70_vgpr71
	s_waitcnt vmcnt(0)
	v_cmpx_ne_u32_e64 v88, v85
	s_cbranch_execz .LBB4_221
; %bb.223:                              ;   in Loop: Header=BB4_222 Depth=2
	v_add_co_u32 v70, vcc_lo, v74, 1
	v_add_co_ci_u32_e64 v71, null, 0, v75, vcc_lo
	v_add_co_u32 v72, s8, v72, 4
	v_cmp_ge_i32_e32 vcc_lo, v70, v87
	v_add_co_ci_u32_e64 v73, null, 0, v73, s8
	s_andn2_b32 s8, s21, exec_lo
	s_andn2_b32 s20, s20, exec_lo
	s_and_b32 s21, vcc_lo, exec_lo
	s_or_b32 s21, s8, s21
	s_branch .LBB4_221
.LBB4_224:                              ;   in Loop: Header=BB4_122 Depth=1
	s_inst_prefetch 0x2
	s_or_b32 exec_lo, exec_lo, s19
	s_and_saveexec_b32 s8, s15
	s_xor_b32 s8, exec_lo, s8
	s_cbranch_execz .LBB4_226
; %bb.225:                              ;   in Loop: Header=BB4_122 Depth=1
	v_lshlrev_b64 v[70:71], 3, v[74:75]
	v_add_nc_u32_e32 v86, 1, v86
	v_add_co_u32 v70, vcc_lo, s10, v70
	v_add_co_ci_u32_e64 v71, null, s11, v71, vcc_lo
	global_load_dwordx2 v[70:71], v[70:71], off
	s_waitcnt vmcnt(0)
	v_div_scale_f64 v[72:73], null, v[2:3], v[2:3], v[70:71]
	v_rcp_f64_e32 v[74:75], v[72:73]
	v_fma_f64 v[87:88], -v[72:73], v[74:75], 1.0
	v_fma_f64 v[74:75], v[74:75], v[87:88], v[74:75]
	v_fma_f64 v[87:88], -v[72:73], v[74:75], 1.0
	v_fma_f64 v[74:75], v[74:75], v[87:88], v[74:75]
	v_div_scale_f64 v[87:88], vcc_lo, v[70:71], v[2:3], v[70:71]
	v_mul_f64 v[89:90], v[87:88], v[74:75]
	v_fma_f64 v[72:73], -v[72:73], v[89:90], v[87:88]
	v_div_fmas_f64 v[72:73], v[72:73], v[74:75], v[89:90]
	v_div_fixup_f64 v[70:71], v[72:73], v[2:3], v[70:71]
	v_add_f64 v[68:69], v[68:69], v[70:71]
.LBB4_226:                              ;   in Loop: Header=BB4_122 Depth=1
	s_or_b32 exec_lo, exec_lo, s8
.LBB4_227:                              ;   in Loop: Header=BB4_122 Depth=1
	s_or_b32 exec_lo, exec_lo, s14
	s_or_b32 exec_lo, exec_lo, s9
	s_and_saveexec_b32 s8, s7
	s_xor_b32 s8, exec_lo, s8
	s_cbranch_execz .LBB4_190
.LBB4_228:                              ;   in Loop: Header=BB4_122 Depth=1
	s_mov_b32 s9, exec_lo
	v_cmpx_eq_u32_e64 v85, v84
	s_cbranch_execz .LBB4_230
; %bb.229:                              ;   in Loop: Header=BB4_122 Depth=1
	global_load_dwordx2 v[70:71], v[30:31], off offset:8
	v_add_nc_u32_e32 v86, 1, v86
	s_waitcnt vmcnt(0)
	v_div_scale_f64 v[72:73], null, v[0:1], v[0:1], v[70:71]
	v_rcp_f64_e32 v[74:75], v[72:73]
	v_fma_f64 v[87:88], -v[72:73], v[74:75], 1.0
	v_fma_f64 v[74:75], v[74:75], v[87:88], v[74:75]
	v_fma_f64 v[87:88], -v[72:73], v[74:75], 1.0
	v_fma_f64 v[74:75], v[74:75], v[87:88], v[74:75]
	v_div_scale_f64 v[87:88], vcc_lo, v[70:71], v[0:1], v[70:71]
	v_mul_f64 v[89:90], v[87:88], v[74:75]
	v_fma_f64 v[72:73], -v[72:73], v[89:90], v[87:88]
	v_div_fmas_f64 v[72:73], v[72:73], v[74:75], v[89:90]
	v_div_fixup_f64 v[70:71], v[72:73], v[0:1], v[70:71]
	v_add_f64 v[68:69], v[68:69], v[70:71]
.LBB4_230:                              ;   in Loop: Header=BB4_122 Depth=1
	s_or_b32 exec_lo, exec_lo, s9
                                        ; implicit-def: $vgpr85
	s_andn2_saveexec_b32 s9, s8
	s_cbranch_execz .LBB4_121
.LBB4_231:                              ;   in Loop: Header=BB4_122 Depth=1
	s_clause 0x1
	global_load_dword v70, v[64:65], off
	global_load_dword v87, v[52:53], off
	s_mov_b32 s14, exec_lo
	s_waitcnt vmcnt(0)
	v_cmpx_lt_i32_e64 v70, v87
	s_cbranch_execz .LBB4_120
; %bb.232:                              ;   in Loop: Header=BB4_122 Depth=1
	v_ashrrev_i32_e32 v71, 31, v70
	s_mov_b32 s19, 0
                                        ; implicit-def: $sgpr15
                                        ; implicit-def: $sgpr21
                                        ; implicit-def: $sgpr20
	v_lshlrev_b64 v[72:73], 2, v[70:71]
	v_add_co_u32 v72, vcc_lo, s12, v72
	v_add_co_ci_u32_e64 v73, null, s13, v73, vcc_lo
	s_inst_prefetch 0x1
	s_branch .LBB4_234
	.p2align	6
.LBB4_233:                              ;   in Loop: Header=BB4_234 Depth=2
	s_or_b32 exec_lo, exec_lo, s22
	s_and_b32 s8, exec_lo, s21
	s_or_b32 s19, s8, s19
	s_andn2_b32 s8, s15, exec_lo
	s_and_b32 s15, s20, exec_lo
	s_or_b32 s15, s8, s15
	s_andn2_b32 exec_lo, exec_lo, s19
	s_cbranch_execz .LBB4_236
.LBB4_234:                              ;   Parent Loop BB4_122 Depth=1
                                        ; =>  This Inner Loop Header: Depth=2
	global_load_dword v88, v[72:73], off
	v_mov_b32_e32 v75, v71
	v_mov_b32_e32 v74, v70
	s_or_b32 s20, s20, exec_lo
	s_or_b32 s21, s21, exec_lo
	s_mov_b32 s22, exec_lo
                                        ; implicit-def: $vgpr70_vgpr71
	s_waitcnt vmcnt(0)
	v_cmpx_ne_u32_e64 v88, v85
	s_cbranch_execz .LBB4_233
; %bb.235:                              ;   in Loop: Header=BB4_234 Depth=2
	v_add_co_u32 v70, vcc_lo, v74, 1
	v_add_co_ci_u32_e64 v71, null, 0, v75, vcc_lo
	v_add_co_u32 v72, s8, v72, 4
	v_cmp_ge_i32_e32 vcc_lo, v70, v87
	v_add_co_ci_u32_e64 v73, null, 0, v73, s8
	s_andn2_b32 s8, s21, exec_lo
	s_andn2_b32 s20, s20, exec_lo
	s_and_b32 s21, vcc_lo, exec_lo
	s_or_b32 s21, s8, s21
	s_branch .LBB4_233
.LBB4_236:                              ;   in Loop: Header=BB4_122 Depth=1
	s_inst_prefetch 0x2
	s_or_b32 exec_lo, exec_lo, s19
	s_and_saveexec_b32 s8, s15
	s_xor_b32 s8, exec_lo, s8
	s_cbranch_execz .LBB4_119
; %bb.237:                              ;   in Loop: Header=BB4_122 Depth=1
	v_lshlrev_b64 v[70:71], 3, v[74:75]
	v_add_nc_u32_e32 v86, 1, v86
	v_add_co_u32 v70, vcc_lo, s10, v70
	v_add_co_ci_u32_e64 v71, null, s11, v71, vcc_lo
	global_load_dwordx2 v[70:71], v[70:71], off
	s_waitcnt vmcnt(0)
	v_div_scale_f64 v[72:73], null, v[0:1], v[0:1], v[70:71]
	v_rcp_f64_e32 v[74:75], v[72:73]
	v_fma_f64 v[87:88], -v[72:73], v[74:75], 1.0
	v_fma_f64 v[74:75], v[74:75], v[87:88], v[74:75]
	v_fma_f64 v[87:88], -v[72:73], v[74:75], 1.0
	v_fma_f64 v[74:75], v[74:75], v[87:88], v[74:75]
	v_div_scale_f64 v[87:88], vcc_lo, v[70:71], v[0:1], v[70:71]
	v_mul_f64 v[89:90], v[87:88], v[74:75]
	v_fma_f64 v[72:73], -v[72:73], v[89:90], v[87:88]
	v_div_fmas_f64 v[72:73], v[72:73], v[74:75], v[89:90]
	v_div_fixup_f64 v[70:71], v[72:73], v[0:1], v[70:71]
	v_add_f64 v[68:69], v[68:69], v[70:71]
	s_branch .LBB4_119
.LBB4_238:
	s_endpgm
	.section	.rodata,"a",@progbits
	.p2align	6, 0x0
	.amdhsa_kernel _Z9ccc_loop3PKiS0_S0_PKdS2_PdS3_S2_S2_iiPi
		.amdhsa_group_segment_fixed_size 0
		.amdhsa_private_segment_fixed_size 0
		.amdhsa_kernarg_size 344
		.amdhsa_user_sgpr_count 6
		.amdhsa_user_sgpr_private_segment_buffer 1
		.amdhsa_user_sgpr_dispatch_ptr 0
		.amdhsa_user_sgpr_queue_ptr 0
		.amdhsa_user_sgpr_kernarg_segment_ptr 1
		.amdhsa_user_sgpr_dispatch_id 0
		.amdhsa_user_sgpr_flat_scratch_init 0
		.amdhsa_user_sgpr_private_segment_size 0
		.amdhsa_wavefront_size32 1
		.amdhsa_uses_dynamic_stack 0
		.amdhsa_system_sgpr_private_segment_wavefront_offset 0
		.amdhsa_system_sgpr_workgroup_id_x 1
		.amdhsa_system_sgpr_workgroup_id_y 1
		.amdhsa_system_sgpr_workgroup_id_z 0
		.amdhsa_system_sgpr_workgroup_info 0
		.amdhsa_system_vgpr_workitem_id 1
		.amdhsa_next_free_vgpr 91
		.amdhsa_next_free_sgpr 23
		.amdhsa_reserve_vcc 1
		.amdhsa_reserve_flat_scratch 0
		.amdhsa_float_round_mode_32 0
		.amdhsa_float_round_mode_16_64 0
		.amdhsa_float_denorm_mode_32 3
		.amdhsa_float_denorm_mode_16_64 3
		.amdhsa_dx10_clamp 1
		.amdhsa_ieee_mode 1
		.amdhsa_fp16_overflow 0
		.amdhsa_workgroup_processor_mode 1
		.amdhsa_memory_ordered 1
		.amdhsa_forward_progress 1
		.amdhsa_shared_vgpr_count 0
		.amdhsa_exception_fp_ieee_invalid_op 0
		.amdhsa_exception_fp_denorm_src 0
		.amdhsa_exception_fp_ieee_div_zero 0
		.amdhsa_exception_fp_ieee_overflow 0
		.amdhsa_exception_fp_ieee_underflow 0
		.amdhsa_exception_fp_ieee_inexact 0
		.amdhsa_exception_int_div_zero 0
	.end_amdhsa_kernel
	.text
.Lfunc_end4:
	.size	_Z9ccc_loop3PKiS0_S0_PKdS2_PdS3_S2_S2_iiPi, .Lfunc_end4-_Z9ccc_loop3PKiS0_S0_PKdS2_PdS3_S2_S2_iiPi
                                        ; -- End function
	.set _Z9ccc_loop3PKiS0_S0_PKdS2_PdS3_S2_S2_iiPi.num_vgpr, 91
	.set _Z9ccc_loop3PKiS0_S0_PKdS2_PdS3_S2_S2_iiPi.num_agpr, 0
	.set _Z9ccc_loop3PKiS0_S0_PKdS2_PdS3_S2_S2_iiPi.numbered_sgpr, 23
	.set _Z9ccc_loop3PKiS0_S0_PKdS2_PdS3_S2_S2_iiPi.num_named_barrier, 0
	.set _Z9ccc_loop3PKiS0_S0_PKdS2_PdS3_S2_S2_iiPi.private_seg_size, 0
	.set _Z9ccc_loop3PKiS0_S0_PKdS2_PdS3_S2_S2_iiPi.uses_vcc, 1
	.set _Z9ccc_loop3PKiS0_S0_PKdS2_PdS3_S2_S2_iiPi.uses_flat_scratch, 0
	.set _Z9ccc_loop3PKiS0_S0_PKdS2_PdS3_S2_S2_iiPi.has_dyn_sized_stack, 0
	.set _Z9ccc_loop3PKiS0_S0_PKdS2_PdS3_S2_S2_iiPi.has_recursion, 0
	.set _Z9ccc_loop3PKiS0_S0_PKdS2_PdS3_S2_S2_iiPi.has_indirect_call, 0
	.section	.AMDGPU.csdata,"",@progbits
; Kernel info:
; codeLenInByte = 12964
; TotalNumSgprs: 25
; NumVgprs: 91
; ScratchSize: 0
; MemoryBound: 0
; FloatMode: 240
; IeeeMode: 1
; LDSByteSize: 0 bytes/workgroup (compile time only)
; SGPRBlocks: 0
; VGPRBlocks: 11
; NumSGPRsForWavesPerEU: 25
; NumVGPRsForWavesPerEU: 91
; Occupancy: 10
; WaveLimiterHint : 1
; COMPUTE_PGM_RSRC2:SCRATCH_EN: 0
; COMPUTE_PGM_RSRC2:USER_SGPR: 6
; COMPUTE_PGM_RSRC2:TRAP_HANDLER: 0
; COMPUTE_PGM_RSRC2:TGID_X_EN: 1
; COMPUTE_PGM_RSRC2:TGID_Y_EN: 1
; COMPUTE_PGM_RSRC2:TGID_Z_EN: 0
; COMPUTE_PGM_RSRC2:TIDIG_COMP_CNT: 1
	.text
	.p2alignl 6, 3214868480
	.fill 48, 4, 3214868480
	.section	.AMDGPU.gpr_maximums,"",@progbits
	.set amdgpu.max_num_vgpr, 0
	.set amdgpu.max_num_agpr, 0
	.set amdgpu.max_num_sgpr, 0
	.text
	.type	__hip_cuid_51d86aa17007343b,@object ; @__hip_cuid_51d86aa17007343b
	.section	.bss,"aw",@nobits
	.globl	__hip_cuid_51d86aa17007343b
__hip_cuid_51d86aa17007343b:
	.byte	0                               ; 0x0
	.size	__hip_cuid_51d86aa17007343b, 1

	.ident	"AMD clang version 22.0.0git (https://github.com/RadeonOpenCompute/llvm-project roc-7.2.4 26084 f58b06dce1f9c15707c5f808fd002e18c2accf7e)"
	.section	".note.GNU-stack","",@progbits
	.addrsig
	.addrsig_sym __hip_cuid_51d86aa17007343b
	.amdgpu_metadata
---
amdhsa.kernels:
  - .args:
      - .actual_access:  read_only
        .address_space:  global
        .offset:         0
        .size:           8
        .value_kind:     global_buffer
      - .actual_access:  read_only
        .address_space:  global
        .offset:         8
        .size:           8
        .value_kind:     global_buffer
      - .actual_access:  read_only
        .address_space:  global
        .offset:         16
        .size:           8
        .value_kind:     global_buffer
      - .actual_access:  read_only
        .address_space:  global
        .offset:         24
        .size:           8
        .value_kind:     global_buffer
      - .actual_access:  read_only
        .address_space:  global
        .offset:         32
        .size:           8
        .value_kind:     global_buffer
      - .actual_access:  read_only
        .address_space:  global
        .offset:         40
        .size:           8
        .value_kind:     global_buffer
      - .actual_access:  write_only
        .address_space:  global
        .offset:         48
        .size:           8
        .value_kind:     global_buffer
      - .offset:         56
        .size:           4
        .value_kind:     by_value
      - .offset:         60
        .size:           4
        .value_kind:     by_value
      - .actual_access:  read_only
        .address_space:  global
        .offset:         64
        .size:           8
        .value_kind:     global_buffer
      - .offset:         72
        .size:           4
        .value_kind:     hidden_block_count_x
      - .offset:         76
        .size:           4
        .value_kind:     hidden_block_count_y
      - .offset:         80
        .size:           4
        .value_kind:     hidden_block_count_z
      - .offset:         84
        .size:           2
        .value_kind:     hidden_group_size_x
      - .offset:         86
        .size:           2
        .value_kind:     hidden_group_size_y
      - .offset:         88
        .size:           2
        .value_kind:     hidden_group_size_z
      - .offset:         90
        .size:           2
        .value_kind:     hidden_remainder_x
      - .offset:         92
        .size:           2
        .value_kind:     hidden_remainder_y
      - .offset:         94
        .size:           2
        .value_kind:     hidden_remainder_z
      - .offset:         112
        .size:           8
        .value_kind:     hidden_global_offset_x
      - .offset:         120
        .size:           8
        .value_kind:     hidden_global_offset_y
      - .offset:         128
        .size:           8
        .value_kind:     hidden_global_offset_z
      - .offset:         136
        .size:           2
        .value_kind:     hidden_grid_dims
    .group_segment_fixed_size: 0
    .kernarg_segment_align: 8
    .kernarg_segment_size: 328
    .language:       OpenCL C
    .language_version:
      - 2
      - 0
    .max_flat_workgroup_size: 1024
    .name:           _Z9ccc_loop1PKiS0_PKdS2_S2_S2_PdiiPi
    .private_segment_fixed_size: 0
    .sgpr_count:     10
    .sgpr_spill_count: 0
    .symbol:         _Z9ccc_loop1PKiS0_PKdS2_S2_S2_PdiiPi.kd
    .uniform_work_group_size: 1
    .uses_dynamic_stack: false
    .vgpr_count:     14
    .vgpr_spill_count: 0
    .wavefront_size: 32
    .workgroup_processor_mode: 1
  - .args:
      - .actual_access:  read_only
        .address_space:  global
        .offset:         0
        .size:           8
        .value_kind:     global_buffer
      - .actual_access:  read_only
        .address_space:  global
        .offset:         8
        .size:           8
        .value_kind:     global_buffer
      - .actual_access:  read_only
        .address_space:  global
        .offset:         16
        .size:           8
        .value_kind:     global_buffer
      - .actual_access:  write_only
        .address_space:  global
        .offset:         24
        .size:           8
        .value_kind:     global_buffer
      - .actual_access:  read_only
        .address_space:  global
        .offset:         32
        .size:           8
        .value_kind:     global_buffer
      - .offset:         40
        .size:           4
        .value_kind:     by_value
      - .actual_access:  read_only
        .address_space:  global
        .offset:         48
        .size:           8
        .value_kind:     global_buffer
      - .actual_access:  read_only
        .address_space:  global
        .offset:         56
        .size:           8
        .value_kind:     global_buffer
      - .offset:         64
        .size:           4
        .value_kind:     by_value
      - .offset:         68
        .size:           4
        .value_kind:     by_value
      - .offset:         72
        .size:           4
        .value_kind:     hidden_block_count_x
      - .offset:         76
        .size:           4
        .value_kind:     hidden_block_count_y
      - .offset:         80
        .size:           4
        .value_kind:     hidden_block_count_z
      - .offset:         84
        .size:           2
        .value_kind:     hidden_group_size_x
      - .offset:         86
        .size:           2
        .value_kind:     hidden_group_size_y
      - .offset:         88
        .size:           2
        .value_kind:     hidden_group_size_z
      - .offset:         90
        .size:           2
        .value_kind:     hidden_remainder_x
      - .offset:         92
        .size:           2
        .value_kind:     hidden_remainder_y
      - .offset:         94
        .size:           2
        .value_kind:     hidden_remainder_z
      - .offset:         112
        .size:           8
        .value_kind:     hidden_global_offset_x
      - .offset:         120
        .size:           8
        .value_kind:     hidden_global_offset_y
      - .offset:         128
        .size:           8
        .value_kind:     hidden_global_offset_z
      - .offset:         136
        .size:           2
        .value_kind:     hidden_grid_dims
    .group_segment_fixed_size: 0
    .kernarg_segment_align: 8
    .kernarg_segment_size: 328
    .language:       OpenCL C
    .language_version:
      - 2
      - 0
    .max_flat_workgroup_size: 1024
    .name:           _Z11ccc_loop1_2PKdS0_S0_PdPKiiS3_S3_ii
    .private_segment_fixed_size: 0
    .sgpr_count:     22
    .sgpr_spill_count: 0
    .symbol:         _Z11ccc_loop1_2PKdS0_S0_PdPKiiS3_S3_ii.kd
    .uniform_work_group_size: 1
    .uses_dynamic_stack: false
    .vgpr_count:     14
    .vgpr_spill_count: 0
    .wavefront_size: 32
    .workgroup_processor_mode: 1
  - .args:
      - .actual_access:  read_only
        .address_space:  global
        .offset:         0
        .size:           8
        .value_kind:     global_buffer
      - .actual_access:  read_only
        .address_space:  global
        .offset:         8
        .size:           8
        .value_kind:     global_buffer
      - .actual_access:  read_only
        .address_space:  global
        .offset:         16
        .size:           8
        .value_kind:     global_buffer
      - .actual_access:  read_only
        .address_space:  global
        .offset:         24
        .size:           8
        .value_kind:     global_buffer
      - .actual_access:  read_only
        .address_space:  global
        .offset:         32
        .size:           8
        .value_kind:     global_buffer
      - .actual_access:  read_only
        .address_space:  global
        .offset:         40
        .size:           8
        .value_kind:     global_buffer
      - .actual_access:  read_only
        .address_space:  global
        .offset:         48
        .size:           8
        .value_kind:     global_buffer
      - .actual_access:  read_only
        .address_space:  global
        .offset:         56
        .size:           8
        .value_kind:     global_buffer
      - .actual_access:  read_only
        .address_space:  global
        .offset:         64
        .size:           8
        .value_kind:     global_buffer
      - .actual_access:  write_only
        .address_space:  global
        .offset:         72
        .size:           8
        .value_kind:     global_buffer
      - .actual_access:  read_only
        .address_space:  global
        .offset:         80
        .size:           8
        .value_kind:     global_buffer
      - .offset:         88
        .size:           4
        .value_kind:     by_value
      - .offset:         92
        .size:           4
        .value_kind:     by_value
      - .actual_access:  read_only
        .address_space:  global
        .offset:         96
        .size:           8
        .value_kind:     global_buffer
      - .offset:         104
        .size:           4
        .value_kind:     hidden_block_count_x
      - .offset:         108
        .size:           4
        .value_kind:     hidden_block_count_y
      - .offset:         112
        .size:           4
        .value_kind:     hidden_block_count_z
      - .offset:         116
        .size:           2
        .value_kind:     hidden_group_size_x
      - .offset:         118
        .size:           2
        .value_kind:     hidden_group_size_y
      - .offset:         120
        .size:           2
        .value_kind:     hidden_group_size_z
      - .offset:         122
        .size:           2
        .value_kind:     hidden_remainder_x
      - .offset:         124
        .size:           2
        .value_kind:     hidden_remainder_y
      - .offset:         126
        .size:           2
        .value_kind:     hidden_remainder_z
      - .offset:         144
        .size:           8
        .value_kind:     hidden_global_offset_x
      - .offset:         152
        .size:           8
        .value_kind:     hidden_global_offset_y
      - .offset:         160
        .size:           8
        .value_kind:     hidden_global_offset_z
      - .offset:         168
        .size:           2
        .value_kind:     hidden_grid_dims
    .group_segment_fixed_size: 0
    .kernarg_segment_align: 8
    .kernarg_segment_size: 360
    .language:       OpenCL C
    .language_version:
      - 2
      - 0
    .max_flat_workgroup_size: 1024
    .name:           _Z9ccc_loop2PKiS0_S0_PKdS2_S2_S2_S2_S2_PdS3_iiPi
    .private_segment_fixed_size: 0
    .sgpr_count:     10
    .sgpr_spill_count: 0
    .symbol:         _Z9ccc_loop2PKiS0_S0_PKdS2_S2_S2_S2_S2_PdS3_iiPi.kd
    .uniform_work_group_size: 1
    .uses_dynamic_stack: false
    .vgpr_count:     8
    .vgpr_spill_count: 0
    .wavefront_size: 32
    .workgroup_processor_mode: 1
  - .args:
      - .actual_access:  read_only
        .address_space:  global
        .offset:         0
        .size:           8
        .value_kind:     global_buffer
      - .actual_access:  read_only
        .address_space:  global
        .offset:         8
        .size:           8
        .value_kind:     global_buffer
      - .actual_access:  read_only
        .address_space:  global
        .offset:         16
        .size:           8
        .value_kind:     global_buffer
      - .actual_access:  read_only
        .address_space:  global
        .offset:         24
        .size:           8
        .value_kind:     global_buffer
      - .actual_access:  read_only
        .address_space:  global
        .offset:         32
        .size:           8
        .value_kind:     global_buffer
      - .actual_access:  write_only
        .address_space:  global
        .offset:         40
        .size:           8
        .value_kind:     global_buffer
      - .actual_access:  read_only
        .address_space:  global
        .offset:         48
        .size:           8
        .value_kind:     global_buffer
      - .offset:         56
        .size:           4
        .value_kind:     by_value
      - .offset:         64
        .size:           4
        .value_kind:     hidden_block_count_x
      - .offset:         68
        .size:           4
        .value_kind:     hidden_block_count_y
      - .offset:         72
        .size:           4
        .value_kind:     hidden_block_count_z
      - .offset:         76
        .size:           2
        .value_kind:     hidden_group_size_x
      - .offset:         78
        .size:           2
        .value_kind:     hidden_group_size_y
      - .offset:         80
        .size:           2
        .value_kind:     hidden_group_size_z
      - .offset:         82
        .size:           2
        .value_kind:     hidden_remainder_x
      - .offset:         84
        .size:           2
        .value_kind:     hidden_remainder_y
      - .offset:         86
        .size:           2
        .value_kind:     hidden_remainder_z
      - .offset:         104
        .size:           8
        .value_kind:     hidden_global_offset_x
      - .offset:         112
        .size:           8
        .value_kind:     hidden_global_offset_y
      - .offset:         120
        .size:           8
        .value_kind:     hidden_global_offset_z
      - .offset:         128
        .size:           2
        .value_kind:     hidden_grid_dims
    .group_segment_fixed_size: 0
    .kernarg_segment_align: 8
    .kernarg_segment_size: 320
    .language:       OpenCL C
    .language_version:
      - 2
      - 0
    .max_flat_workgroup_size: 1024
    .name:           _Z11ccc_loop2_2PKiPKdS2_S2_S2_PdPii
    .private_segment_fixed_size: 0
    .sgpr_count:     18
    .sgpr_spill_count: 0
    .symbol:         _Z11ccc_loop2_2PKiPKdS2_S2_S2_PdPii.kd
    .uniform_work_group_size: 1
    .uses_dynamic_stack: false
    .vgpr_count:     14
    .vgpr_spill_count: 0
    .wavefront_size: 32
    .workgroup_processor_mode: 1
  - .args:
      - .actual_access:  read_only
        .address_space:  global
        .offset:         0
        .size:           8
        .value_kind:     global_buffer
      - .actual_access:  read_only
        .address_space:  global
        .offset:         8
        .size:           8
        .value_kind:     global_buffer
      - .actual_access:  read_only
        .address_space:  global
        .offset:         16
        .size:           8
        .value_kind:     global_buffer
      - .actual_access:  read_only
        .address_space:  global
        .offset:         24
        .size:           8
        .value_kind:     global_buffer
      - .actual_access:  read_only
        .address_space:  global
        .offset:         32
        .size:           8
        .value_kind:     global_buffer
      - .actual_access:  write_only
        .address_space:  global
        .offset:         40
        .size:           8
        .value_kind:     global_buffer
      - .actual_access:  write_only
        .address_space:  global
        .offset:         48
        .size:           8
        .value_kind:     global_buffer
      - .actual_access:  read_only
        .address_space:  global
        .offset:         56
        .size:           8
        .value_kind:     global_buffer
      - .actual_access:  read_only
        .address_space:  global
        .offset:         64
        .size:           8
        .value_kind:     global_buffer
      - .offset:         72
        .size:           4
        .value_kind:     by_value
      - .offset:         76
        .size:           4
        .value_kind:     by_value
      - .actual_access:  read_only
        .address_space:  global
        .offset:         80
        .size:           8
        .value_kind:     global_buffer
      - .offset:         88
        .size:           4
        .value_kind:     hidden_block_count_x
      - .offset:         92
        .size:           4
        .value_kind:     hidden_block_count_y
      - .offset:         96
        .size:           4
        .value_kind:     hidden_block_count_z
      - .offset:         100
        .size:           2
        .value_kind:     hidden_group_size_x
      - .offset:         102
        .size:           2
        .value_kind:     hidden_group_size_y
      - .offset:         104
        .size:           2
        .value_kind:     hidden_group_size_z
      - .offset:         106
        .size:           2
        .value_kind:     hidden_remainder_x
      - .offset:         108
        .size:           2
        .value_kind:     hidden_remainder_y
      - .offset:         110
        .size:           2
        .value_kind:     hidden_remainder_z
      - .offset:         128
        .size:           8
        .value_kind:     hidden_global_offset_x
      - .offset:         136
        .size:           8
        .value_kind:     hidden_global_offset_y
      - .offset:         144
        .size:           8
        .value_kind:     hidden_global_offset_z
      - .offset:         152
        .size:           2
        .value_kind:     hidden_grid_dims
    .group_segment_fixed_size: 0
    .kernarg_segment_align: 8
    .kernarg_segment_size: 344
    .language:       OpenCL C
    .language_version:
      - 2
      - 0
    .max_flat_workgroup_size: 1024
    .name:           _Z9ccc_loop3PKiS0_S0_PKdS2_PdS3_S2_S2_iiPi
    .private_segment_fixed_size: 0
    .sgpr_count:     25
    .sgpr_spill_count: 0
    .symbol:         _Z9ccc_loop3PKiS0_S0_PKdS2_PdS3_S2_S2_iiPi.kd
    .uniform_work_group_size: 1
    .uses_dynamic_stack: false
    .vgpr_count:     91
    .vgpr_spill_count: 0
    .wavefront_size: 32
    .workgroup_processor_mode: 1
amdhsa.target:   amdgcn-amd-amdhsa--gfx1030
amdhsa.version:
  - 1
  - 2
...

	.end_amdgpu_metadata
